;; amdgpu-corpus repo=ROCm/rocFFT kind=compiled arch=gfx950 opt=O3
	.text
	.amdgcn_target "amdgcn-amd-amdhsa--gfx950"
	.amdhsa_code_object_version 6
	.protected	fft_rtc_fwd_len2430_factors_10_3_3_3_3_3_wgs_81_tpt_81_halfLds_sp_op_CI_CI_unitstride_sbrr_dirReg ; -- Begin function fft_rtc_fwd_len2430_factors_10_3_3_3_3_3_wgs_81_tpt_81_halfLds_sp_op_CI_CI_unitstride_sbrr_dirReg
	.globl	fft_rtc_fwd_len2430_factors_10_3_3_3_3_3_wgs_81_tpt_81_halfLds_sp_op_CI_CI_unitstride_sbrr_dirReg
	.p2align	8
	.type	fft_rtc_fwd_len2430_factors_10_3_3_3_3_3_wgs_81_tpt_81_halfLds_sp_op_CI_CI_unitstride_sbrr_dirReg,@function
fft_rtc_fwd_len2430_factors_10_3_3_3_3_3_wgs_81_tpt_81_halfLds_sp_op_CI_CI_unitstride_sbrr_dirReg: ; @fft_rtc_fwd_len2430_factors_10_3_3_3_3_3_wgs_81_tpt_81_halfLds_sp_op_CI_CI_unitstride_sbrr_dirReg
; %bb.0:
	s_load_dwordx4 s[8:11], s[0:1], 0x58
	s_load_dwordx4 s[4:7], s[0:1], 0x0
	;; [unrolled: 1-line block ×3, first 2 shown]
	v_mul_u32_u24_e32 v1, 0x32a, v0
	v_add_u32_sdwa v4, s2, v1 dst_sel:DWORD dst_unused:UNUSED_PAD src0_sel:DWORD src1_sel:WORD_1
	v_mov_b32_e32 v2, 0
	s_waitcnt lgkmcnt(0)
	v_cmp_lt_u64_e64 s[2:3], s[6:7], 2
	v_mov_b32_e32 v5, v2
	s_and_b64 vcc, exec, s[2:3]
	v_mov_b64_e32 v[48:49], 0
	s_cbranch_vccnz .LBB0_8
; %bb.1:
	s_load_dwordx2 s[2:3], s[0:1], 0x10
	s_add_u32 s16, s14, 8
	s_addc_u32 s17, s15, 0
	s_add_u32 s18, s12, 8
	s_addc_u32 s19, s13, 0
	s_waitcnt lgkmcnt(0)
	s_add_u32 s20, s2, 8
	v_mov_b64_e32 v[48:49], 0
	s_addc_u32 s21, s3, 0
	s_mov_b64 s[22:23], 1
	v_mov_b64_e32 v[20:21], v[48:49]
.LBB0_2:                                ; =>This Inner Loop Header: Depth=1
	s_load_dwordx2 s[24:25], s[20:21], 0x0
                                        ; implicit-def: $vgpr22_vgpr23
	s_waitcnt lgkmcnt(0)
	v_or_b32_e32 v3, s25, v5
	v_cmp_ne_u64_e32 vcc, 0, v[2:3]
	s_and_saveexec_b64 s[2:3], vcc
	s_xor_b64 s[26:27], exec, s[2:3]
	s_cbranch_execz .LBB0_4
; %bb.3:                                ;   in Loop: Header=BB0_2 Depth=1
	v_cvt_f32_u32_e32 v1, s24
	v_cvt_f32_u32_e32 v3, s25
	s_sub_u32 s2, 0, s24
	s_subb_u32 s3, 0, s25
	v_fmac_f32_e32 v1, 0x4f800000, v3
	v_rcp_f32_e32 v1, v1
	s_nop 0
	v_mul_f32_e32 v1, 0x5f7ffffc, v1
	v_mul_f32_e32 v3, 0x2f800000, v1
	v_trunc_f32_e32 v3, v3
	v_fmac_f32_e32 v1, 0xcf800000, v3
	v_cvt_u32_f32_e32 v3, v3
	v_cvt_u32_f32_e32 v1, v1
	v_mul_lo_u32 v6, s2, v3
	v_mul_hi_u32 v8, s2, v1
	v_mul_lo_u32 v7, s3, v1
	v_add_u32_e32 v8, v8, v6
	v_mul_lo_u32 v10, s2, v1
	v_add_u32_e32 v11, v8, v7
	v_mul_hi_u32 v6, v1, v10
	v_mul_hi_u32 v9, v1, v11
	v_mul_lo_u32 v8, v1, v11
	v_mov_b32_e32 v7, v2
	v_lshl_add_u64 v[6:7], v[6:7], 0, v[8:9]
	v_mul_hi_u32 v9, v3, v10
	v_mul_lo_u32 v10, v3, v10
	v_add_co_u32_e32 v6, vcc, v6, v10
	v_mul_hi_u32 v8, v3, v11
	s_nop 0
	v_addc_co_u32_e32 v6, vcc, v7, v9, vcc
	v_mov_b32_e32 v7, v2
	s_nop 0
	v_addc_co_u32_e32 v9, vcc, 0, v8, vcc
	v_mul_lo_u32 v8, v3, v11
	v_lshl_add_u64 v[6:7], v[6:7], 0, v[8:9]
	v_add_co_u32_e32 v1, vcc, v1, v6
	v_mul_lo_u32 v8, s2, v1
	s_nop 0
	v_addc_co_u32_e32 v3, vcc, v3, v7, vcc
	v_mul_lo_u32 v6, s2, v3
	v_mul_hi_u32 v7, s2, v1
	v_add_u32_e32 v6, v7, v6
	v_mul_lo_u32 v7, s3, v1
	v_add_u32_e32 v10, v6, v7
	v_mul_hi_u32 v12, v3, v8
	v_mul_lo_u32 v13, v3, v8
	v_mul_hi_u32 v7, v1, v10
	v_mul_lo_u32 v6, v1, v10
	v_mul_hi_u32 v8, v1, v8
	v_mov_b32_e32 v9, v2
	v_lshl_add_u64 v[6:7], v[8:9], 0, v[6:7]
	v_add_co_u32_e32 v6, vcc, v6, v13
	v_mul_hi_u32 v11, v3, v10
	s_nop 0
	v_addc_co_u32_e32 v6, vcc, v7, v12, vcc
	v_mul_lo_u32 v8, v3, v10
	s_nop 0
	v_addc_co_u32_e32 v9, vcc, 0, v11, vcc
	v_mov_b32_e32 v7, v2
	v_lshl_add_u64 v[6:7], v[6:7], 0, v[8:9]
	v_add_co_u32_e32 v1, vcc, v1, v6
	v_mul_hi_u32 v8, v4, v1
	s_nop 0
	v_addc_co_u32_e32 v3, vcc, v3, v7, vcc
	v_mad_u64_u32 v[6:7], s[2:3], v4, v3, 0
	v_mov_b32_e32 v9, v2
	v_lshl_add_u64 v[6:7], v[8:9], 0, v[6:7]
	v_mad_u64_u32 v[10:11], s[2:3], v5, v1, 0
	v_add_co_u32_e32 v1, vcc, v6, v10
	v_mad_u64_u32 v[8:9], s[2:3], v5, v3, 0
	s_nop 0
	v_addc_co_u32_e32 v6, vcc, v7, v11, vcc
	v_mov_b32_e32 v7, v2
	s_nop 0
	v_addc_co_u32_e32 v9, vcc, 0, v9, vcc
	v_lshl_add_u64 v[6:7], v[6:7], 0, v[8:9]
	v_mul_lo_u32 v1, s25, v6
	v_mul_lo_u32 v3, s24, v7
	v_mad_u64_u32 v[8:9], s[2:3], s24, v6, 0
	v_add3_u32 v1, v9, v3, v1
	v_sub_u32_e32 v3, v5, v1
	v_mov_b32_e32 v9, s25
	v_sub_co_u32_e32 v12, vcc, v4, v8
	v_lshl_add_u64 v[10:11], v[6:7], 0, 1
	s_nop 0
	v_subb_co_u32_e64 v3, s[2:3], v3, v9, vcc
	v_subrev_co_u32_e64 v8, s[2:3], s24, v12
	v_subb_co_u32_e32 v1, vcc, v5, v1, vcc
	s_nop 0
	v_subbrev_co_u32_e64 v3, s[2:3], 0, v3, s[2:3]
	v_cmp_le_u32_e64 s[2:3], s25, v3
	v_cmp_le_u32_e32 vcc, s25, v1
	s_nop 0
	v_cndmask_b32_e64 v9, 0, -1, s[2:3]
	v_cmp_le_u32_e64 s[2:3], s24, v8
	s_nop 1
	v_cndmask_b32_e64 v8, 0, -1, s[2:3]
	v_cmp_eq_u32_e64 s[2:3], s25, v3
	s_nop 1
	v_cndmask_b32_e64 v3, v9, v8, s[2:3]
	v_lshl_add_u64 v[8:9], v[6:7], 0, 2
	v_cmp_ne_u32_e64 s[2:3], 0, v3
	s_nop 1
	v_cndmask_b32_e64 v3, v11, v9, s[2:3]
	v_cndmask_b32_e64 v9, 0, -1, vcc
	v_cmp_le_u32_e32 vcc, s24, v12
	s_nop 1
	v_cndmask_b32_e64 v11, 0, -1, vcc
	v_cmp_eq_u32_e32 vcc, s25, v1
	s_nop 1
	v_cndmask_b32_e32 v1, v9, v11, vcc
	v_cmp_ne_u32_e32 vcc, 0, v1
	v_cndmask_b32_e64 v1, v10, v8, s[2:3]
	s_nop 0
	v_cndmask_b32_e32 v23, v7, v3, vcc
	v_cndmask_b32_e32 v22, v6, v1, vcc
.LBB0_4:                                ;   in Loop: Header=BB0_2 Depth=1
	s_andn2_saveexec_b64 s[2:3], s[26:27]
	s_cbranch_execz .LBB0_6
; %bb.5:                                ;   in Loop: Header=BB0_2 Depth=1
	v_cvt_f32_u32_e32 v1, s24
	s_sub_i32 s26, 0, s24
	v_mov_b32_e32 v23, v2
	v_rcp_iflag_f32_e32 v1, v1
	s_nop 0
	v_mul_f32_e32 v1, 0x4f7ffffe, v1
	v_cvt_u32_f32_e32 v1, v1
	v_mul_lo_u32 v3, s26, v1
	v_mul_hi_u32 v3, v1, v3
	v_add_u32_e32 v1, v1, v3
	v_mul_hi_u32 v1, v4, v1
	v_mul_lo_u32 v3, v1, s24
	v_sub_u32_e32 v3, v4, v3
	v_add_u32_e32 v6, 1, v1
	v_subrev_u32_e32 v7, s24, v3
	v_cmp_le_u32_e32 vcc, s24, v3
	s_nop 1
	v_cndmask_b32_e32 v3, v3, v7, vcc
	v_cndmask_b32_e32 v1, v1, v6, vcc
	v_add_u32_e32 v6, 1, v1
	v_cmp_le_u32_e32 vcc, s24, v3
	s_nop 1
	v_cndmask_b32_e32 v22, v1, v6, vcc
.LBB0_6:                                ;   in Loop: Header=BB0_2 Depth=1
	s_or_b64 exec, exec, s[2:3]
	v_mad_u64_u32 v[6:7], s[2:3], v22, s24, 0
	s_load_dwordx2 s[2:3], s[18:19], 0x0
	v_mul_lo_u32 v1, v23, s24
	v_mul_lo_u32 v3, v22, s25
	s_load_dwordx2 s[24:25], s[16:17], 0x0
	s_add_u32 s22, s22, 1
	v_add3_u32 v1, v7, v3, v1
	v_sub_co_u32_e32 v3, vcc, v4, v6
	s_addc_u32 s23, s23, 0
	s_nop 0
	v_subb_co_u32_e32 v1, vcc, v5, v1, vcc
	s_add_u32 s16, s16, 8
	s_waitcnt lgkmcnt(0)
	v_mul_lo_u32 v4, s2, v1
	v_mul_lo_u32 v5, s3, v3
	v_mad_u64_u32 v[48:49], s[2:3], s2, v3, v[48:49]
	s_addc_u32 s17, s17, 0
	v_add3_u32 v49, v5, v49, v4
	v_mul_lo_u32 v1, s24, v1
	v_mul_lo_u32 v4, s25, v3
	v_mad_u64_u32 v[20:21], s[2:3], s24, v3, v[20:21]
	s_add_u32 s18, s18, 8
	v_add3_u32 v21, v4, v21, v1
	s_addc_u32 s19, s19, 0
	v_mov_b64_e32 v[4:5], s[6:7]
	s_add_u32 s20, s20, 8
	v_cmp_ge_u64_e32 vcc, s[22:23], v[4:5]
	s_addc_u32 s21, s21, 0
	s_cbranch_vccnz .LBB0_9
; %bb.7:                                ;   in Loop: Header=BB0_2 Depth=1
	v_mov_b64_e32 v[4:5], v[22:23]
	s_branch .LBB0_2
.LBB0_8:
	v_mov_b64_e32 v[20:21], v[48:49]
	v_mov_b64_e32 v[22:23], v[4:5]
.LBB0_9:
	s_load_dwordx2 s[0:1], s[0:1], 0x28
	s_lshl_b64 s[16:17], s[6:7], 3
	s_add_u32 s2, s14, s16
	s_addc_u32 s3, s15, s17
                                        ; implicit-def: $vgpr122
	s_waitcnt lgkmcnt(0)
	v_cmp_gt_u64_e32 vcc, s[0:1], v[22:23]
	v_cmp_le_u64_e64 s[0:1], s[0:1], v[22:23]
	s_and_saveexec_b64 s[6:7], s[0:1]
	s_xor_b64 s[0:1], exec, s[6:7]
; %bb.10:
	s_mov_b32 s6, 0x3291620
	v_mul_hi_u32 v1, v0, s6
	v_mul_u32_u24_e32 v1, 0x51, v1
	v_sub_u32_e32 v122, v0, v1
                                        ; implicit-def: $vgpr0
                                        ; implicit-def: $vgpr48_vgpr49
; %bb.11:
	s_or_saveexec_b64 s[6:7], s[0:1]
                                        ; implicit-def: $vgpr1
                                        ; implicit-def: $vgpr18
                                        ; implicit-def: $vgpr63
                                        ; implicit-def: $vgpr38
                                        ; implicit-def: $vgpr99
                                        ; implicit-def: $vgpr74
                                        ; implicit-def: $vgpr10
                                        ; implicit-def: $vgpr2
                                        ; implicit-def: $vgpr88
                                        ; implicit-def: $vgpr86
                                        ; implicit-def: $vgpr82
                                        ; implicit-def: $vgpr34
                                        ; implicit-def: $vgpr16
                                        ; implicit-def: $vgpr52
                                        ; implicit-def: $vgpr54
                                        ; implicit-def: $vgpr42
                                        ; implicit-def: $vgpr12
                                        ; implicit-def: $vgpr8
                                        ; implicit-def: $vgpr30
                                        ; implicit-def: $vgpr32
                                        ; implicit-def: $vgpr36
                                        ; implicit-def: $vgpr76
                                        ; implicit-def: $vgpr44
                                        ; implicit-def: $vgpr24
                                        ; implicit-def: $vgpr6
                                        ; implicit-def: $vgpr26
                                        ; implicit-def: $vgpr14
                                        ; implicit-def: $vgpr46
                                        ; implicit-def: $vgpr4
                                        ; implicit-def: $vgpr90
                                        ; implicit-def: $vgpr78
                                        ; implicit-def: $vgpr40
                                        ; implicit-def: $vgpr28
	s_xor_b64 exec, exec, s[6:7]
	s_cbranch_execz .LBB0_13
; %bb.12:
	s_add_u32 s0, s12, s16
	s_addc_u32 s1, s13, s17
	s_load_dwordx2 s[0:1], s[0:1], 0x0
	s_mov_b32 s12, 0x3291620
	s_waitcnt lgkmcnt(0)
	v_mul_lo_u32 v1, s1, v22
	v_mul_lo_u32 v4, s0, v23
	v_mad_u64_u32 v[2:3], s[0:1], s0, v22, 0
	v_add3_u32 v3, v3, v4, v1
	v_mul_hi_u32 v1, v0, s12
	v_mul_u32_u24_e32 v1, 0x51, v1
	v_sub_u32_e32 v122, v0, v1
	v_lshl_add_u64 v[0:1], v[2:3], 3, s[8:9]
	v_lshl_add_u64 v[0:1], v[48:49], 3, v[0:1]
	v_lshlrev_b32_e32 v2, 3, v122
	v_mov_b32_e32 v3, 0
	v_lshl_add_u64 v[0:1], v[0:1], 0, v[2:3]
	s_movk_i32 s0, 0x1000
	v_add_co_u32_e64 v10, s[0:1], s0, v0
	s_nop 1
	v_addc_co_u32_e64 v11, s[0:1], 0, v1, s[0:1]
	s_movk_i32 s0, 0x2000
	s_nop 0
	v_add_co_u32_e64 v12, s[0:1], s0, v0
	s_nop 1
	v_addc_co_u32_e64 v13, s[0:1], 0, v1, s[0:1]
	s_movk_i32 s0, 0x3000
	s_nop 0
	;; [unrolled: 5-line block ×3, first 2 shown]
	v_add_co_u32_e64 v48, s[0:1], s0, v0
	s_nop 1
	v_addc_co_u32_e64 v49, s[0:1], 0, v1, s[0:1]
	global_load_dwordx2 v[50:51], v[0:1], off
	global_load_dwordx2 v[56:57], v[0:1], off offset:648
	global_load_dwordx2 v[38:39], v[0:1], off offset:2592
	;; [unrolled: 1-line block ×14, first 2 shown]
                                        ; kill: killed $vgpr0 killed $vgpr1
	global_load_dwordx2 v[24:25], v[10:11], off offset:3032
	global_load_dwordx2 v[28:29], v[10:11], off offset:1088
	;; [unrolled: 1-line block ×15, first 2 shown]
	s_waitcnt vmcnt(26)
	v_mov_b32_e32 v35, v41
	s_waitcnt vmcnt(25)
	v_mov_b32_e32 v99, v2
	;; [unrolled: 2-line block ×3, first 2 shown]
	v_mov_b32_e32 v16, v39
	v_mov_b32_e32 v41, v57
	s_waitcnt vmcnt(20)
	v_mov_b32_e32 v2, v75
	s_waitcnt vmcnt(18)
	v_mov_b32_e32 v11, v79
	v_mov_b32_e32 v79, v51
	s_waitcnt vmcnt(16)
	v_mov_b32_e32 v10, v77
	s_waitcnt vmcnt(15)
	;; [unrolled: 5-line block ×3, first 2 shown]
	v_mov_b32_e32 v13, v29
	v_mov_b32_e32 v45, v56
	s_waitcnt vmcnt(11)
	v_mov_b32_e32 v1, v8
	v_mov_b32_e32 v8, v19
	;; [unrolled: 1-line block ×4, first 2 shown]
.LBB0_13:
	s_or_b64 exec, exec, s[6:7]
	v_mov_b32_e32 v64, v4
	v_mov_b32_e32 v65, v78
	s_waitcnt vmcnt(3)
	v_mov_b32_e32 v98, v90
	v_pk_add_f32 v[48:49], v[64:65], v[98:99] neg_lo:[0,1] neg_hi:[0,1]
	v_mov_b32_e32 v50, v89
	v_mov_b32_e32 v0, v49
	v_pk_add_f32 v[102:103], v[48:49], v[0:1]
	v_mov_b32_e32 v48, v87
	v_mov_b32_e32 v49, v10
	;; [unrolled: 1-line block ×6, first 2 shown]
	v_pk_add_f32 v[56:57], v[48:49], v[50:51] neg_lo:[0,1] neg_hi:[0,1]
	v_pk_add_f32 v[48:49], v[100:101], v[62:63] neg_lo:[0,1] neg_hi:[0,1]
	v_mov_b32_e32 v80, v6
	v_mov_b32_e32 v0, v49
	v_pk_add_f32 v[106:107], v[48:49], v[0:1]
	v_mov_b32_e32 v81, v28
	v_mov_b32_e32 v0, v26
	v_pk_add_f32 v[48:49], v[80:81], v[0:1] neg_lo:[0,1] neg_hi:[0,1]
	s_mov_b32 s7, 0x3f167918
	v_mov_b32_e32 v50, v49
	v_pk_add_f32 v[108:109], v[48:49], v[50:51]
	v_mov_b32_e32 v48, v76
	v_mov_b32_e32 v49, v10
	v_pk_add_f32 v[50:51], v[88:89], v[86:87] neg_lo:[0,1] neg_hi:[0,1]
	v_pk_add_f32 v[58:59], v[82:83], v[48:49] neg_lo:[0,1] neg_hi:[0,1]
	s_mov_b32 s0, 0x3f737871
	v_pk_add_f32 v[50:51], v[50:51], v[58:59]
	s_mov_b32 s1, s7
	v_mov_b32_e32 v75, v2
	v_pk_add_f32 v[58:59], v[86:87], v[48:49]
	v_pk_add_f32 v[110:111], v[82:83], v[88:89] neg_lo:[0,1] neg_hi:[0,1]
	v_pk_fma_f32 v[58:59], v[58:59], 0.5, v[74:75] op_sel_hi:[1,0,1] neg_lo:[1,0,0] neg_hi:[1,0,0]
	v_pk_mul_f32 v[60:61], v[110:111], s[0:1] op_sel_hi:[1,0]
	s_mov_b32 s12, s7
	v_pk_add_f32 v[66:67], v[60:61], v[58:59] op_sel:[1,0] op_sel_hi:[0,1]
	v_pk_add_f32 v[58:59], v[58:59], v[60:61] op_sel:[0,1] op_sel_hi:[1,0] neg_lo:[0,1] neg_hi:[0,1]
	v_pk_add_f32 v[60:61], v[48:49], v[86:87] neg_lo:[0,1] neg_hi:[0,1]
	s_mov_b32 s6, 0x3e9e377a
	v_pk_mul_f32 v[48:49], v[60:61], s[12:13] op_sel_hi:[1,0]
	v_add_f32_e32 v19, v4, v78
	v_pk_add_f32 v[66:67], v[66:67], v[48:49] op_sel:[0,1] op_sel_hi:[1,0] neg_lo:[0,1] neg_hi:[0,1]
	v_pk_add_f32 v[58:59], v[48:49], v[58:59] op_sel:[1,0] op_sel_hi:[0,1]
	v_pk_fma_f32 v[48:49], v[50:51], s[6:7], v[66:67] op_sel_hi:[1,0,1]
	v_pk_fma_f32 v[50:51], v[50:51], s[6:7], v[58:59] op_sel_hi:[1,0,1]
	v_pk_add_f32 v[58:59], v[86:87], v[88:89] neg_lo:[0,1] neg_hi:[0,1]
	v_pk_add_f32 v[66:67], v[76:77], v[82:83] neg_lo:[0,1] neg_hi:[0,1]
	v_mov_b32_e32 v59, v58
	v_mov_b32_e32 v58, v56
	;; [unrolled: 1-line block ×4, first 2 shown]
	v_pk_add_f32 v[66:67], v[58:59], v[56:57]
	v_pk_add_f32 v[56:57], v[88:89], v[82:83]
	v_mul_f32_e32 v59, 0.5, v19
	v_pk_fma_f32 v[56:57], v[56:57], 0.5, v[74:75] op_sel_hi:[1,0,1] neg_lo:[1,0,0] neg_hi:[1,0,0]
	v_mov_b32_e32 v58, v5
	v_pk_fma_f32 v[112:113], v[60:61], s[0:1], v[56:57] op_sel:[0,0,1] op_sel_hi:[1,0,0]
	v_pk_fma_f32 v[114:115], v[60:61], s[0:1], v[56:57] op_sel:[0,0,1] op_sel_hi:[1,0,0] neg_lo:[1,0,0] neg_hi:[1,0,0]
	v_mov_b32_e32 v56, v11
	v_mov_b32_e32 v57, v77
	v_pk_add_f32 v[116:117], v[56:57], v[58:59] neg_lo:[0,1] neg_hi:[0,1]
	v_pk_add_f32 v[56:57], v[2:3], v[90:91] neg_lo:[0,1] neg_hi:[0,1]
	v_add_f32_e32 v39, v5, v11
	v_mov_b32_e32 v103, v57
	v_fmamk_f32 v96, v57, 0xbf737871, v117
	v_mul_f32_e32 v19, 0x3f737871, v57
	v_mul_f32_e32 v57, 0.5, v39
	v_mov_b32_e32 v56, v4
	v_add_f32_e32 v39, v15, v35
	v_pk_add_f32 v[120:121], v[78:79], v[56:57] neg_lo:[0,1] neg_hi:[0,1]
	v_mul_f32_e32 v69, 0.5, v39
	v_mov_b32_e32 v68, v14
	v_pk_mul_f32 v[58:59], v[116:117], s[12:13]
	v_sub_f32_e32 v129, v99, v90
	v_pk_mul_f32 v[56:57], v[120:121], s[12:13]
	v_pk_add_f32 v[130:131], v[40:41], v[68:69] neg_lo:[0,1] neg_hi:[0,1]
	v_mov_b32_e32 v97, v58
	v_mul_f32_e32 v105, 0x3f737871, v129
	v_mov_b32_e32 v104, 0x3f167918
	v_mov_b32_e32 v59, v56
	v_fmamk_f32 v58, v129, 0xbf737871, v121
	v_pk_mul_f32 v[68:69], v[130:131], s[12:13]
	v_add_f32_e32 v39, v7, v13
	v_pk_add_f32 v[60:61], v[120:121], v[104:105]
	v_pk_fma_f32 v[56:57], v[120:121], v[104:105], v[58:59]
	v_sub_f32_e32 v121, v63, v46
	v_mov_b32_e32 v93, v68
	v_mul_f32_e32 v69, 0.5, v39
	v_mov_b32_e32 v68, v6
	v_mul_f32_e32 v105, 0x3f737871, v121
	v_fmamk_f32 v92, v121, 0xbf737871, v131
	v_pk_add_f32 v[132:133], v[28:29], v[68:69] neg_lo:[0,1] neg_hi:[0,1]
	v_pk_add_f32 v[94:95], v[130:131], v[104:105]
	v_pk_fma_f32 v[84:85], v[130:131], v[104:105], v[92:93]
	v_sub_f32_e32 v131, v1, v26
	v_pk_mul_f32 v[68:69], v[132:133], s[12:13]
	v_mul_f32_e32 v105, 0x3f737871, v131
	v_mov_b32_e32 v71, v68
	v_fmamk_f32 v70, v131, 0xbf737871, v133
	v_pk_add_f32 v[72:73], v[132:133], v[104:105]
	v_pk_fma_f32 v[68:69], v[132:133], v[104:105], v[70:71]
	v_mov_b32_e32 v105, v19
	v_pk_add_f32 v[118:119], v[116:117], v[104:105]
	v_pk_add_f32 v[64:65], v[98:99], v[64:65] neg_lo:[0,1] neg_hi:[0,1]
	v_pk_add_f32 v[118:119], v[118:119], v[96:97] neg_lo:[0,1] neg_hi:[0,1]
	v_pk_fma_f32 v[96:97], v[116:117], v[104:105], v[96:97]
	v_add_f32_e32 v19, v64, v65
	v_pk_fma_f32 v[64:65], v[110:111], s[12:13], v[114:115] op_sel_hi:[1,0,1] neg_lo:[1,0,0] neg_hi:[1,0,0]
	v_pk_fma_f32 v[114:115], v[110:111], s[12:13], v[112:113] op_sel_hi:[1,0,1]
	v_mov_b32_e32 v97, v119
	v_mov_b32_e32 v115, v65
	v_pk_add_f32 v[118:119], v[10:11], v[78:79]
	v_mul_f32_e32 v58, 0x3e9e377a, v19
	v_mov_b32_e32 v118, v119
	v_mov_b32_e32 v119, v64
	v_pk_fma_f32 v[64:65], v[66:67], s[6:7], v[114:115] op_sel_hi:[1,0,1]
	v_pk_mul_f32 v[114:115], v[66:67], s[6:7] op_sel_hi:[1,0]
	v_add_f32_e32 v19, v90, v99
	v_mov_b32_e32 v66, v3
	v_mov_b32_e32 v67, v114
	v_mul_f32_e32 v75, 0.5, v19
	v_pk_add_f32 v[66:67], v[66:67], v[118:119]
	v_pk_add_f32 v[134:135], v[4:5], v[90:91] neg_lo:[0,1] neg_hi:[0,1]
	v_pk_add_f32 v[118:119], v[76:77], v[74:75]
	v_pk_add_f32 v[124:125], v[76:77], v[74:75] neg_lo:[0,1] neg_hi:[0,1]
	v_mov_b32_e32 v134, v83
	v_mul_f32_e32 v83, 0x3f737871, v116
	v_mov_b32_e32 v119, v125
	v_pk_add_f32 v[74:75], v[82:83], v[118:119]
	v_pk_mul_f32 v[82:83], v[102:103], s[6:7]
	v_mov_b32_e32 v76, v89
	v_mov_b32_e32 v89, v83
	v_pk_add_f32 v[96:97], v[58:59], v[96:97] op_sel_hi:[0,1]
	v_pk_add_f32 v[74:75], v[88:89], v[74:75]
	v_mov_b32_e32 v58, v87
	v_mov_b32_e32 v87, v82
	v_pk_add_f32 v[86:87], v[86:87], v[74:75]
	v_pk_mul_f32 v[74:75], v[110:111], s[12:13] op_sel_hi:[1,0]
	v_mov_b32_e32 v124, v79
	v_mov_b32_e32 v79, v75
	;; [unrolled: 1-line block ×3, first 2 shown]
	v_pk_add_f32 v[74:75], v[78:79], v[112:113]
	v_mov_b32_e32 v114, v99
	v_mov_b32_e32 v79, 0x3f4f1bbd
	v_pk_add_f32 v[74:75], v[114:115], v[74:75]
	v_mov_b32_e32 v78, v91
	v_add_f32_e32 v126, v91, v3
	v_mov_b32_e32 v70, v91
	v_mov_b32_e32 v91, v79
	v_pk_add_f32 v[114:115], v[16:17], v[46:47] neg_lo:[0,1] neg_hi:[0,1]
	v_pk_add_f32 v[112:113], v[8:9], v[26:27] neg_lo:[0,1] neg_hi:[0,1]
	v_pk_add_f32 v[88:89], v[90:91], v[74:75]
	v_pk_mul_f32 v[90:91], v[90:91], v[74:75]
	v_mov_b32_e32 v107, v115
	v_mov_b32_e32 v109, v113
	;; [unrolled: 1-line block ×3, first 2 shown]
	v_mul_f32_e32 v91, 0x3f167918, v67
	v_mov_b32_e32 v90, v4
	v_pk_mul_f32 v[118:119], v[106:107], s[6:7]
	v_pk_mul_f32 v[102:103], v[108:109], s[6:7]
	s_mov_b32 s8, s7
	s_mov_b32 s7, s0
	v_pk_add_f32 v[88:89], v[90:91], v[88:89]
	v_pk_mul_f32 v[90:91], v[48:49], s[6:7]
	v_fmac_f32_e32 v125, 0xbf737871, v116
	v_pk_fma_f32 v[106:107], v[50:51], s[6:7], v[90:91] op_sel:[0,0,1] op_sel_hi:[1,1,0]
	v_pk_fma_f32 v[98:99], v[50:51], s[6:7], v[90:91] op_sel:[0,0,1] op_sel_hi:[1,1,0] neg_lo:[0,0,1] neg_hi:[0,0,1]
	v_sub_f32_e32 v4, v125, v83
	s_mov_b32 s9, 0x3f4f1bbd
	v_mov_b32_e32 v107, v99
	v_add_f32_e32 v4, v82, v4
	v_pk_mul_f32 v[82:83], v[64:65], s[8:9]
	v_mad_u32_u24 v123, v122, 40, 0
	v_pk_add_f32 v[90:91], v[96:97], v[106:107]
	v_pk_add_f32 v[108:109], v[86:87], v[88:89]
	v_mov_b32_e32 v74, v83
	ds_write2_b64 v123, v[108:109], v[90:91] offset1:1
	v_mov_b32_e32 v91, v106
	v_pk_fma_f32 v[106:107], v[64:65], s[8:9], v[74:75] neg_lo:[0,0,1] neg_hi:[0,0,1]
	v_mov_b32_e32 v90, v89
	v_pk_add_f32 v[88:89], v[88:89], v[86:87] neg_lo:[0,1] neg_hi:[0,1]
	v_mov_b32_e32 v86, v87
	v_mov_b32_e32 v87, v96
	v_pk_add_f32 v[82:83], v[4:5], v[106:107]
	v_pk_add_f32 v[86:87], v[86:87], v[90:91] neg_lo:[0,1] neg_hi:[0,1]
	v_mov_b32_e32 v83, v88
	ds_write2_b64 v123, v[82:83], v[86:87] offset0:2 offset1:3
	v_pk_add_f32 v[82:83], v[10:11], v[2:3]
	v_pk_add_f32 v[86:87], v[10:11], v[2:3] neg_lo:[0,1] neg_hi:[0,1]
	v_mov_b32_e32 v88, v53
	v_mov_b32_e32 v83, v87
	s_waitcnt vmcnt(1)
	v_mov_b32_e32 v86, v55
	v_mov_b32_e32 v87, v34
	;; [unrolled: 1-line block ×7, first 2 shown]
	v_pk_add_f32 v[116:117], v[86:87], v[88:89] neg_lo:[0,1] neg_hi:[0,1]
	v_mov_b32_e32 v130, v132
	v_pk_add_f32 v[86:87], v[52:53], v[54:55] neg_lo:[0,1] neg_hi:[0,1]
	v_pk_add_f32 v[88:89], v[42:43], v[108:109] neg_lo:[0,1] neg_hi:[0,1]
	v_pk_mul_f32 v[90:91], v[120:121], s[0:1]
	v_pk_add_f32 v[110:111], v[86:87], v[88:89]
	v_pk_mul_f32 v[88:89], v[128:129], s[0:1]
	v_pk_mul_f32 v[86:87], v[130:131], s[0:1]
	s_mov_b32 s1, s6
	v_mov_b32_e32 v39, v16
	v_pk_add_f32 v[120:121], v[54:55], v[108:109]
	v_pk_add_f32 v[128:129], v[42:43], v[52:53] neg_lo:[0,1] neg_hi:[0,1]
	v_pk_fma_f32 v[120:121], v[120:121], 0.5, v[38:39] op_sel_hi:[1,0,1] neg_lo:[1,0,0] neg_hi:[1,0,0]
	v_pk_mul_f32 v[130:131], v[128:129], s[0:1] op_sel_hi:[1,0]
	v_add_f32_e32 v2, v14, v40
	v_pk_add_f32 v[132:133], v[130:131], v[120:121] op_sel:[1,0] op_sel_hi:[0,1]
	v_pk_add_f32 v[120:121], v[120:121], v[130:131] op_sel:[0,1] op_sel_hi:[1,0] neg_lo:[0,1] neg_hi:[0,1]
	v_pk_add_f32 v[130:131], v[108:109], v[54:55] neg_lo:[0,1] neg_hi:[0,1]
	v_pk_add_f32 v[82:83], v[134:135], v[82:83]
	v_pk_mul_f32 v[108:109], v[130:131], s[12:13] op_sel_hi:[1,0]
	v_mul_f32_e32 v135, 0.5, v2
	v_pk_add_f32 v[132:133], v[132:133], v[108:109] op_sel:[0,1] op_sel_hi:[1,0] neg_lo:[0,1] neg_hi:[0,1]
	v_pk_add_f32 v[120:121], v[108:109], v[120:121] op_sel:[1,0] op_sel_hi:[0,1]
	v_pk_fma_f32 v[108:109], v[110:111], s[6:7], v[132:133] op_sel_hi:[1,0,1]
	v_pk_fma_f32 v[110:111], v[110:111], s[6:7], v[120:121] op_sel_hi:[1,0,1]
	v_pk_add_f32 v[120:121], v[54:55], v[52:53] neg_lo:[0,1] neg_hi:[0,1]
	v_pk_add_f32 v[132:133], v[44:45], v[42:43] neg_lo:[0,1] neg_hi:[0,1]
	v_mov_b32_e32 v121, v120
	v_mov_b32_e32 v120, v116
	;; [unrolled: 1-line block ×4, first 2 shown]
	v_pk_add_f32 v[120:121], v[120:121], v[116:117]
	v_pk_add_f32 v[116:117], v[52:53], v[42:43]
	v_mov_b32_e32 v134, v15
	v_pk_fma_f32 v[116:117], v[116:117], 0.5, v[38:39] op_sel_hi:[1,0,1] neg_lo:[1,0,0] neg_hi:[1,0,0]
	v_mul_f32_e32 v105, 0x3f737871, v115
	v_pk_fma_f32 v[132:133], v[130:131], s[0:1], v[116:117] op_sel:[0,0,1] op_sel_hi:[1,0,0]
	v_pk_fma_f32 v[116:117], v[130:131], s[0:1], v[116:117] op_sel:[0,0,1] op_sel_hi:[1,0,0] neg_lo:[1,0,0] neg_hi:[1,0,0]
	v_mov_b32_e32 v130, v35
	v_mov_b32_e32 v131, v45
	v_pk_add_f32 v[130:131], v[130:131], v[134:135] neg_lo:[0,1] neg_hi:[0,1]
	v_pk_add_f32 v[100:101], v[62:63], v[100:101] neg_lo:[0,1] neg_hi:[0,1]
	v_pk_mul_f32 v[134:135], v[130:131], s[12:13]
	v_add_f32_e32 v2, v100, v101
	v_mov_b32_e32 v135, v134
	v_fmamk_f32 v134, v115, 0xbf737871, v131
	v_pk_add_f32 v[114:115], v[130:131], v[104:105]
	v_mul_f32_e32 v2, 0x3e9e377a, v2
	v_pk_add_f32 v[114:115], v[114:115], v[134:135] neg_lo:[0,1] neg_hi:[0,1]
	v_pk_fma_f32 v[134:135], v[130:131], v[104:105], v[134:135]
	v_pk_fma_f32 v[136:137], v[128:129], s[12:13], v[116:117] op_sel_hi:[1,0,1] neg_lo:[1,0,0] neg_hi:[1,0,0]
	v_mov_b32_e32 v135, v115
	v_pk_add_f32 v[114:115], v[2:3], v[134:135] op_sel_hi:[0,1]
	v_pk_mul_f32 v[134:135], v[120:121], s[6:7] op_sel_hi:[1,0]
	v_pk_add_f32 v[116:117], v[34:35], v[40:41]
	v_add_f32_e32 v2, v46, v63
	v_mov_b32_e32 v100, v17
	v_mov_b32_e32 v101, v134
	v_mov_b32_e32 v116, v117
	v_mov_b32_e32 v117, v136
	v_mul_f32_e32 v39, 0.5, v2
	v_pk_add_f32 v[116:117], v[100:101], v[116:117]
	v_pk_add_f32 v[138:139], v[14:15], v[46:47] neg_lo:[0,1] neg_hi:[0,1]
	v_pk_add_f32 v[100:101], v[44:45], v[38:39]
	v_pk_add_f32 v[140:141], v[44:45], v[38:39] neg_lo:[0,1] neg_hi:[0,1]
	v_mov_b32_e32 v138, v43
	v_mul_f32_e32 v43, 0x3f737871, v130
	v_mov_b32_e32 v101, v141
	v_mov_b32_e32 v77, 0x3e9e377a
	v_pk_add_f32 v[38:39], v[42:43], v[100:101]
	v_pk_add_f32 v[100:101], v[76:77], v[82:83]
	v_mov_b32_e32 v76, v53
	v_mov_b32_e32 v53, v119
	v_pk_add_f32 v[38:39], v[52:53], v[38:39]
	v_mov_b32_e32 v42, v55
	v_mov_b32_e32 v55, v118
	v_pk_add_f32 v[142:143], v[54:55], v[38:39]
	v_pk_mul_f32 v[38:39], v[128:129], s[12:13] op_sel_hi:[1,0]
	v_mov_b32_e32 v57, v41
	v_mov_b32_e32 v41, v39
	v_pk_fma_f32 v[54:55], v[128:129], s[12:13], v[132:133] op_sel_hi:[1,0,1]
	v_mov_b32_e32 v132, v45
	v_pk_add_f32 v[38:39], v[40:41], v[132:133]
	v_mov_b32_e32 v134, v63
	v_pk_add_f32 v[38:39], v[134:135], v[38:39]
	v_pk_add_f32 v[52:53], v[78:79], v[66:67]
	v_mov_b32_e32 v78, v47
	v_add_f32_e32 v43, v47, v17
	v_mov_b32_e32 v44, v47
	v_mov_b32_e32 v47, v79
	v_pk_add_f32 v[40:41], v[46:47], v[38:39]
	v_pk_mul_f32 v[46:47], v[46:47], v[38:39]
	v_mov_b32_e32 v55, v137
	v_mov_b32_e32 v41, v47
	v_mul_f32_e32 v47, 0x3f167918, v117
	v_mov_b32_e32 v46, v14
	v_pk_add_f32 v[46:47], v[46:47], v[40:41]
	v_pk_mul_f32 v[40:41], v[108:109], s[6:7]
	v_pk_add_f32 v[132:133], v[142:143], v[46:47]
	v_pk_fma_f32 v[62:63], v[110:111], s[6:7], v[40:41] op_sel:[0,0,1] op_sel_hi:[1,1,0]
	v_pk_fma_f32 v[40:41], v[110:111], s[6:7], v[40:41] op_sel:[0,0,1] op_sel_hi:[1,1,0] neg_lo:[0,0,1] neg_hi:[0,0,1]
	v_pk_fma_f32 v[54:55], v[120:121], s[6:7], v[54:55] op_sel_hi:[1,0,1]
	v_mov_b32_e32 v63, v41
	v_pk_add_f32 v[128:129], v[114:115], v[62:63]
	v_mov_b32_e32 v63, v62
	v_mov_b32_e32 v62, v47
	v_pk_add_f32 v[120:121], v[46:47], v[142:143] neg_lo:[0,1] neg_hi:[0,1]
	v_mov_b32_e32 v46, v143
	v_mov_b32_e32 v47, v114
	v_fmac_f32_e32 v141, 0xbf737871, v130
	v_pk_add_f32 v[62:63], v[46:47], v[62:63] neg_lo:[0,1] neg_hi:[0,1]
	v_pk_mul_f32 v[46:47], v[54:55], s[8:9]
	v_sub_f32_e32 v2, v141, v119
	v_mov_b32_e32 v10, v47
	v_add_f32_e32 v2, v118, v2
	v_pk_fma_f32 v[46:47], v[54:55], s[8:9], v[10:11] neg_lo:[0,0,1] neg_hi:[0,0,1]
	v_add_u32_e32 v101, 0xcb8, v123
	v_pk_add_f32 v[118:119], v[2:3], v[46:47]
	v_add_u32_e32 v69, 0xca8, v123
	v_mov_b32_e32 v119, v120
	ds_write2_b64 v101, v[118:119], v[62:63] offset1:1
	v_pk_add_f32 v[62:63], v[34:35], v[16:17]
	v_pk_add_f32 v[118:119], v[34:35], v[16:17] neg_lo:[0,1] neg_hi:[0,1]
	v_mov_b32_e32 v120, v31
	v_mov_b32_e32 v63, v119
	s_waitcnt vmcnt(0)
	v_mov_b32_e32 v118, v33
	v_mov_b32_e32 v119, v12
	v_mov_b32_e32 v121, v37
	ds_write2_b64 v69, v[132:133], v[128:129] offset1:1
	v_pk_add_f32 v[128:129], v[118:119], v[120:121] neg_lo:[0,1] neg_hi:[0,1]
	v_pk_add_f32 v[120:121], v[138:139], v[62:63]
	v_mov_b32_e32 v62, v24
	v_mov_b32_e32 v63, v12
	v_pk_add_f32 v[118:119], v[30:31], v[32:33] neg_lo:[0,1] neg_hi:[0,1]
	v_pk_add_f32 v[130:131], v[36:37], v[62:63] neg_lo:[0,1] neg_hi:[0,1]
	v_mov_b32_e32 v19, v8
	v_pk_add_f32 v[118:119], v[118:119], v[130:131]
	v_pk_add_f32 v[130:131], v[32:33], v[62:63]
	v_pk_add_f32 v[132:133], v[36:37], v[30:31] neg_lo:[0,1] neg_hi:[0,1]
	v_pk_fma_f32 v[130:131], v[130:131], 0.5, v[18:19] op_sel_hi:[1,0,1] neg_lo:[1,0,0] neg_hi:[1,0,0]
	v_pk_mul_f32 v[134:135], v[132:133], s[0:1] op_sel_hi:[1,0]
	v_add_f32_e32 v10, v6, v28
	v_pk_add_f32 v[136:137], v[134:135], v[130:131] op_sel:[1,0] op_sel_hi:[0,1]
	v_pk_add_f32 v[130:131], v[130:131], v[134:135] op_sel:[0,1] op_sel_hi:[1,0] neg_lo:[0,1] neg_hi:[0,1]
	v_pk_add_f32 v[134:135], v[62:63], v[32:33] neg_lo:[0,1] neg_hi:[0,1]
	v_mul_f32_e32 v139, 0.5, v10
	v_pk_mul_f32 v[62:63], v[134:135], s[12:13] op_sel_hi:[1,0]
	v_mov_b32_e32 v138, v7
	v_pk_add_f32 v[136:137], v[136:137], v[62:63] op_sel:[0,1] op_sel_hi:[1,0] neg_lo:[0,1] neg_hi:[0,1]
	v_pk_add_f32 v[130:131], v[62:63], v[130:131] op_sel:[1,0] op_sel_hi:[0,1]
	v_pk_fma_f32 v[62:63], v[118:119], s[6:7], v[136:137] op_sel_hi:[1,0,1]
	v_pk_fma_f32 v[118:119], v[118:119], s[6:7], v[130:131] op_sel_hi:[1,0,1]
	v_pk_add_f32 v[130:131], v[32:33], v[30:31] neg_lo:[0,1] neg_hi:[0,1]
	v_pk_add_f32 v[136:137], v[24:25], v[36:37] neg_lo:[0,1] neg_hi:[0,1]
	v_mov_b32_e32 v131, v130
	v_mov_b32_e32 v130, v128
	v_mov_b32_e32 v128, v129
	v_mov_b32_e32 v129, v136
	v_pk_add_f32 v[128:129], v[130:131], v[128:129]
	v_pk_add_f32 v[130:131], v[30:31], v[36:37]
	v_mul_f32_e32 v105, 0x3f737871, v113
	v_pk_fma_f32 v[130:131], v[130:131], 0.5, v[18:19] op_sel_hi:[1,0,1] neg_lo:[1,0,0] neg_hi:[1,0,0]
	v_pk_add_f32 v[80:81], v[0:1], v[80:81] neg_lo:[0,1] neg_hi:[0,1]
	v_pk_fma_f32 v[136:137], v[134:135], s[0:1], v[130:131] op_sel:[0,0,1] op_sel_hi:[1,0,0]
	v_pk_fma_f32 v[130:131], v[134:135], s[0:1], v[130:131] op_sel:[0,0,1] op_sel_hi:[1,0,0] neg_lo:[1,0,0] neg_hi:[1,0,0]
	v_mov_b32_e32 v134, v13
	v_mov_b32_e32 v135, v25
	v_pk_add_f32 v[134:135], v[134:135], v[138:139] neg_lo:[0,1] neg_hi:[0,1]
	v_add_f32_e32 v0, v80, v81
	v_pk_mul_f32 v[138:139], v[134:135], s[12:13]
	v_mul_f32_e32 v0, 0x3e9e377a, v0
	v_mov_b32_e32 v139, v138
	v_fmamk_f32 v138, v113, 0xbf737871, v135
	v_pk_add_f32 v[112:113], v[134:135], v[104:105]
	v_pk_fma_f32 v[104:105], v[134:135], v[104:105], v[138:139]
	v_pk_add_f32 v[112:113], v[112:113], v[138:139] neg_lo:[0,1] neg_hi:[0,1]
	v_pk_mul_f32 v[138:139], v[128:129], s[6:7] op_sel_hi:[1,0]
	v_mov_b32_e32 v105, v113
	v_pk_add_f32 v[112:113], v[0:1], v[104:105] op_sel_hi:[0,1]
	v_pk_fma_f32 v[130:131], v[132:133], s[12:13], v[130:131] op_sel_hi:[1,0,1] neg_lo:[1,0,0] neg_hi:[1,0,0]
	v_pk_add_f32 v[104:105], v[12:13], v[28:29]
	v_add_f32_e32 v0, v26, v1
	v_mov_b32_e32 v80, v9
	v_mov_b32_e32 v81, v138
	;; [unrolled: 1-line block ×4, first 2 shown]
	v_mul_f32_e32 v19, 0.5, v0
	v_pk_add_f32 v[80:81], v[80:81], v[104:105]
	v_pk_add_f32 v[104:105], v[6:7], v[26:27] neg_lo:[0,1] neg_hi:[0,1]
	v_pk_add_f32 v[140:141], v[24:25], v[18:19]
	v_pk_add_f32 v[142:143], v[24:25], v[18:19] neg_lo:[0,1] neg_hi:[0,1]
	v_mov_b32_e32 v104, v37
	v_mul_f32_e32 v37, 0x3f737871, v134
	v_mov_b32_e32 v141, v143
	v_pk_add_f32 v[18:19], v[36:37], v[140:141]
	v_pk_add_f32 v[36:37], v[76:77], v[120:121]
	v_mov_b32_e32 v76, v31
	v_mov_b32_e32 v31, v103
	v_pk_add_f32 v[18:19], v[30:31], v[18:19]
	v_mov_b32_e32 v14, v33
	v_mov_b32_e32 v33, v102
	v_pk_add_f32 v[30:31], v[32:33], v[18:19]
	v_pk_mul_f32 v[18:19], v[132:133], s[12:13] op_sel_hi:[1,0]
	v_mov_b32_e32 v127, v29
	v_mov_b32_e32 v29, v19
	v_pk_fma_f32 v[32:33], v[132:133], s[12:13], v[136:137] op_sel_hi:[1,0,1]
	v_mov_b32_e32 v136, v25
	v_pk_add_f32 v[18:19], v[28:29], v[136:137]
	v_mov_b32_e32 v138, v1
	v_pk_add_f32 v[18:19], v[138:139], v[18:19]
	v_pk_add_f32 v[24:25], v[78:79], v[116:117]
	v_mov_b32_e32 v78, v27
	v_add_f32_e32 v144, v27, v9
	v_mov_b32_e32 v16, v27
	v_mov_b32_e32 v27, v79
	v_pk_add_f32 v[0:1], v[26:27], v[18:19]
	v_pk_mul_f32 v[26:27], v[26:27], v[18:19]
	v_add_u32_e32 v145, 0x1950, v123
	v_mov_b32_e32 v1, v27
	v_mul_f32_e32 v27, 0x3f167918, v81
	v_mov_b32_e32 v26, v6
	v_pk_add_f32 v[26:27], v[26:27], v[0:1]
	v_pk_mul_f32 v[0:1], v[62:63], s[6:7]
	v_pk_add_f32 v[136:137], v[30:31], v[26:27]
	v_pk_fma_f32 v[28:29], v[118:119], s[6:7], v[0:1] op_sel:[0,0,1] op_sel_hi:[1,1,0]
	v_pk_fma_f32 v[132:133], v[118:119], s[6:7], v[0:1] op_sel:[0,0,1] op_sel_hi:[1,1,0] neg_lo:[0,0,1] neg_hi:[0,0,1]
	v_mov_b32_e32 v33, v131
	v_mov_b32_e32 v29, v133
	v_pk_add_f32 v[0:1], v[112:113], v[28:29]
	ds_write2_b64 v145, v[136:137], v[0:1] offset1:1
	v_pk_fma_f32 v[0:1], v[128:129], s[6:7], v[32:33] op_sel_hi:[1,0,1]
	v_mov_b32_e32 v29, v28
	v_mov_b32_e32 v28, v27
	v_pk_add_f32 v[26:27], v[26:27], v[30:31] neg_lo:[0,1] neg_hi:[0,1]
	v_mov_b32_e32 v30, v31
	v_mov_b32_e32 v31, v112
	v_fmac_f32_e32 v143, 0xbf737871, v134
	v_pk_add_f32 v[28:29], v[30:31], v[28:29] neg_lo:[0,1] neg_hi:[0,1]
	v_pk_mul_f32 v[30:31], v[0:1], s[8:9]
	v_sub_f32_e32 v6, v143, v103
	v_mov_b32_e32 v10, v31
	v_add_f32_e32 v6, v102, v6
	v_pk_fma_f32 v[30:31], v[0:1], s[8:9], v[10:11] neg_lo:[0,0,1] neg_hi:[0,0,1]
	v_add_u32_e32 v146, 0x1960, v123
	v_pk_add_f32 v[32:33], v[6:7], v[30:31]
	v_mov_b32_e32 v45, v17
	v_mov_b32_e32 v33, v26
	ds_write2_b64 v146, v[32:33], v[28:29] offset1:1
	v_mov_b32_e32 v34, v15
	v_pk_add_f32 v[28:29], v[94:95], v[92:93] neg_lo:[0,1] neg_hi:[0,1]
	v_fmac_f32_e32 v57, -0.5, v43
	v_pk_add_f32 v[26:27], v[44:45], v[34:35] neg_lo:[0,1] neg_hi:[0,1]
	v_mov_b32_e32 v85, v29
	v_mov_b32_e32 v28, v97
	v_mov_b32_e32 v29, v4
	v_mov_b32_e32 v32, v99
	v_mov_b32_e32 v33, v106
	v_sub_f32_e32 v4, v57, v90
	v_pk_add_f32 v[28:29], v[28:29], v[32:33] neg_lo:[0,1] neg_hi:[0,1]
	v_sub_f32_e32 v43, v4, v91
	v_add_f32_e32 v4, v26, v27
	s_mov_b32 s12, 0xbf737871
	s_mov_b32 s13, s6
	v_pk_mul_f32 v[26:27], v[110:111], s[0:1]
	ds_write_b64 v123, v[28:29] offset:32
	v_pk_fma_f32 v[136:137], v[108:109], s[12:13], v[26:27] op_sel:[0,0,1] op_sel_hi:[1,1,0] neg_lo:[0,0,1] neg_hi:[0,0,1]
	v_mov_b32_e32 v26, v115
	v_mov_b32_e32 v27, v2
	;; [unrolled: 1-line block ×4, first 2 shown]
	v_pk_add_f32 v[26:27], v[26:27], v[28:29] neg_lo:[0,1] neg_hi:[0,1]
	s_mov_b32 s7, s6
	ds_write_b64 v123, v[26:27] offset:3272
	v_mul_f32_e32 v27, 0x3f167918, v39
	v_mov_b32_e32 v26, v15
	v_mov_b32_e32 v2, v15
	v_pk_mul_f32 v[128:129], v[120:121], s[6:7]
	v_mul_f32_e32 v4, 0x3e9e377a, v4
	v_pk_add_f32 v[138:139], v[24:25], v[2:3] op_sel_hi:[1,0]
	v_pk_fma_f32 v[140:141], v[116:117], s[8:9], v[26:27] neg_lo:[0,0,1] neg_hi:[0,0,1]
	v_mov_b32_e32 v24, v113
	v_mov_b32_e32 v25, v6
	;; [unrolled: 1-line block ×4, first 2 shown]
	v_add_f32_e32 v2, v90, v57
	v_mov_b32_e32 v37, v129
	v_pk_add_f32 v[134:135], v[4:5], v[84:85] op_sel_hi:[0,1]
	v_pk_add_f32 v[24:25], v[24:25], v[26:27] neg_lo:[0,1] neg_hi:[0,1]
	s_movk_i32 s6, 0xffdc
	v_add_f32_e32 v2, v91, v2
	v_pk_add_f32 v[130:131], v[42:43], v[36:37]
	ds_write_b64 v123, v[24:25] offset:6512
	v_pk_add_f32 v[24:25], v[134:135], v[136:137]
	v_mov_b32_e32 v139, v141
	v_mad_i32_i24 v94, v122, s6, v123
	v_add_u32_e32 v74, 0x144, v122
	v_add_f32_e32 v90, v129, v2
	s_mov_b32 s6, 0xbf167918
	v_mul_f32_e32 v2, 0x3f4f1bbd, v54
	v_mov_b32_e32 v132, v25
	v_mov_b32_e32 v133, v24
	v_add_u32_e32 v84, 0x195, v122
	v_lshl_add_u32 v96, v74, 2, 0
	v_add_u32_e32 v92, 0x237, v122
	v_add_u32_e32 v85, 0x1e6, v122
	;; [unrolled: 1-line block ×4, first 2 shown]
	v_pk_add_f32 v[142:143], v[130:131], v[138:139]
	v_mov_b32_e32 v91, v138
	v_fma_f32 v54, v55, s6, -v2
	v_mov_b32_e32 v55, v130
	v_mov_b32_e32 v128, v131
	;; [unrolled: 1-line block ×5, first 2 shown]
	s_load_dwordx2 s[2:3], s[2:3], 0x0
	s_waitcnt lgkmcnt(0)
	s_barrier
	v_lshl_add_u32 v97, v84, 2, 0
	v_lshl_add_u32 v98, v85, 2, 0
	;; [unrolled: 1-line block ×5, first 2 shown]
	v_add_u32_e32 v99, 0xc00, v94
	v_add_u32_e32 v95, 0x1800, v94
	;; [unrolled: 1-line block ×10, first 2 shown]
	ds_read_b32 v125, v96
	ds_read_b32 v121, v97
	;; [unrolled: 1-line block ×6, first 2 shown]
	ds_read2_b32 v[26:27], v94 offset1:81
	ds_read2_b32 v[46:47], v99 offset0:42 offset1:123
	ds_read2_b32 v[44:45], v95 offset0:84 offset1:165
	ds_read2_b32 v[24:25], v94 offset0:162 offset1:243
	ds_read2_b32 v[42:43], v103 offset0:76 offset1:157
	ds_read2_b32 v[40:41], v106 offset0:118 offset1:199
	ds_read2_b32 v[38:39], v110 offset0:110 offset1:191
	ds_read2_b32 v[36:37], v111 offset0:152 offset1:233
	ds_read2_b32 v[34:35], v112 offset0:16 offset1:97
	ds_read2_b32 v[32:33], v113 offset0:58 offset1:139
	ds_read2_b32 v[30:31], v114 offset0:50 offset1:131
	ds_read2_b32 v[28:29], v115 offset0:92 offset1:173
	s_waitcnt lgkmcnt(0)
	s_barrier
	ds_write2_b64 v69, v[142:143], v[132:133] offset1:1
	v_pk_add_f32 v[128:129], v[128:129], v[130:131] neg_lo:[0,1] neg_hi:[0,1]
	v_pk_add_f32 v[130:131], v[90:91], v[54:55]
	v_pk_add_f32 v[132:133], v[90:91], v[54:55] neg_lo:[0,1] neg_hi:[0,1]
	v_mov_b32_e32 v17, v9
	v_mov_b32_e32 v131, v133
	ds_write2_b64 v101, v[130:131], v[128:129] offset1:1
	v_pk_add_f32 v[128:129], v[12:13], v[8:9]
	v_pk_add_f32 v[130:131], v[12:13], v[8:9] neg_lo:[0,1] neg_hi:[0,1]
	v_mov_b32_e32 v12, v7
	v_fmac_f32_e32 v127, -0.5, v144
	v_pk_add_f32 v[8:9], v[16:17], v[12:13] neg_lo:[0,1] neg_hi:[0,1]
	v_sub_f32_e32 v2, v127, v86
	v_pk_add_f32 v[12:13], v[72:73], v[70:71] neg_lo:[0,1] neg_hi:[0,1]
	v_sub_f32_e32 v15, v2, v87
	v_add_f32_e32 v2, v8, v9
	v_mov_b32_e32 v69, v13
	v_mul_f32_e32 v2, 0x3e9e377a, v2
	v_pk_add_f32 v[8:9], v[2:3], v[68:69] op_sel_hi:[0,1]
	v_mov_b32_e32 v18, v7
	v_mov_b32_e32 v2, v7
	v_pk_add_f32 v[6:7], v[78:79], v[80:81]
	v_mov_b32_e32 v71, v3
	v_mov_b32_e32 v10, v5
	v_pk_add_f32 v[6:7], v[6:7], v[2:3] op_sel_hi:[1,0]
	v_pk_add_f32 v[2:3], v[70:71], v[10:11] neg_lo:[0,1] neg_hi:[0,1]
	v_fmac_f32_e32 v124, -0.5, v126
	v_pk_add_f32 v[10:11], v[60:61], v[58:59] neg_lo:[0,1] neg_hi:[0,1]
	v_sub_f32_e32 v4, v124, v88
	v_add_f32_e32 v2, v2, v3
	v_pk_mul_f32 v[50:51], v[50:51], s[0:1]
	v_mov_b32_e32 v129, v131
	v_mov_b32_e32 v57, v11
	v_sub_f32_e32 v59, v4, v89
	v_pk_mul_f32 v[10:11], v[82:83], s[6:7]
	v_mul_f32_e32 v2, 0x3e9e377a, v2
	v_pk_fma_f32 v[48:49], v[48:49], s[12:13], v[50:51] op_sel:[0,0,1] op_sel_hi:[1,1,0] neg_lo:[0,0,1] neg_hi:[0,0,1]
	v_mul_f32_e32 v51, 0x3f167918, v75
	v_mov_b32_e32 v50, v5
	v_mov_b32_e32 v4, v5
	v_pk_add_f32 v[12:13], v[104:105], v[128:129]
	v_mov_b32_e32 v101, v11
	v_pk_add_f32 v[2:3], v[2:3], v[56:57] op_sel_hi:[0,1]
	v_pk_add_f32 v[4:5], v[52:53], v[4:5] op_sel_hi:[1,0]
	v_pk_fma_f32 v[50:51], v[66:67], s[8:9], v[50:51] neg_lo:[0,0,1] neg_hi:[0,0,1]
	v_pk_add_f32 v[16:17], v[76:77], v[12:13]
	v_pk_mul_f32 v[12:13], v[12:13], s[6:7]
	v_pk_add_f32 v[58:59], v[58:59], v[100:101]
	v_pk_add_f32 v[56:57], v[2:3], v[48:49]
	v_mov_b32_e32 v5, v51
	v_mov_b32_e32 v17, v13
	v_mov_b32_e32 v60, v57
	v_mov_b32_e32 v61, v56
	v_pk_add_f32 v[56:57], v[58:59], v[4:5]
	v_add_f32_e32 v5, v88, v124
	v_pk_add_f32 v[14:15], v[14:15], v[16:17]
	v_pk_mul_f32 v[16:17], v[118:119], s[0:1]
	v_mul_f32_e32 v19, 0x3f167918, v19
	v_add_f32_e32 v5, v89, v5
	v_pk_fma_f32 v[16:17], v[62:63], s[12:13], v[16:17] op_sel:[0,0,1] op_sel_hi:[1,1,0] neg_lo:[0,0,1] neg_hi:[0,0,1]
	v_pk_fma_f32 v[18:19], v[80:81], s[8:9], v[18:19] neg_lo:[0,0,1] neg_hi:[0,0,1]
	v_add_f32_e32 v10, v11, v5
	v_mov_b32_e32 v11, v4
	v_mul_f32_e32 v4, 0x3f4f1bbd, v64
	v_pk_add_f32 v[62:63], v[8:9], v[16:17]
	v_mov_b32_e32 v7, v19
	ds_write2_b64 v123, v[56:57], v[60:61] offset1:1
	v_fma_f32 v4, v65, s6, -v4
	v_mov_b32_e32 v5, v58
	v_mov_b32_e32 v56, v59
	;; [unrolled: 1-line block ×5, first 2 shown]
	v_add_f32_e32 v3, v86, v127
	v_mov_b32_e32 v68, v63
	v_mov_b32_e32 v69, v62
	v_pk_add_f32 v[62:63], v[14:15], v[6:7]
	v_pk_add_f32 v[50:51], v[56:57], v[50:51] neg_lo:[0,1] neg_hi:[0,1]
	v_pk_add_f32 v[56:57], v[10:11], v[4:5]
	v_pk_add_f32 v[58:59], v[10:11], v[4:5] neg_lo:[0,1] neg_hi:[0,1]
	v_add_f32_e32 v7, v87, v3
	v_mov_b32_e32 v3, v10
	v_mov_b32_e32 v49, v4
	;; [unrolled: 1-line block ×3, first 2 shown]
	v_pk_add_f32 v[2:3], v[2:3], v[48:49] neg_lo:[0,1] neg_hi:[0,1]
	v_mov_b32_e32 v135, v90
	v_mov_b32_e32 v137, v54
	v_mul_f32_e32 v0, 0x3f4f1bbd, v0
	ds_write2_b64 v145, v[62:63], v[68:69] offset1:1
	ds_write2_b64 v123, v[56:57], v[50:51] offset0:2 offset1:3
	v_pk_add_f32 v[4:5], v[134:135], v[136:137] neg_lo:[0,1] neg_hi:[0,1]
	ds_write_b64 v123, v[2:3] offset:32
	ds_write_b64 v123, v[4:5] offset:3272
	v_add_f32_e32 v2, v13, v7
	v_fma_f32 v0, v1, s6, -v0
	v_mov_b32_e32 v3, v6
	v_mov_b32_e32 v1, v14
	;; [unrolled: 1-line block ×8, first 2 shown]
	v_pk_add_f32 v[4:5], v[4:5], v[6:7] neg_lo:[0,1] neg_hi:[0,1]
	v_pk_add_f32 v[6:7], v[2:3], v[0:1]
	v_pk_add_f32 v[10:11], v[2:3], v[0:1] neg_lo:[0,1] neg_hi:[0,1]
	v_pk_add_f32 v[0:1], v[8:9], v[16:17] neg_lo:[0,1] neg_hi:[0,1]
	s_movk_i32 s0, 0xcd
	ds_write_b64 v123, v[0:1] offset:6512
	v_mul_lo_u16_sdwa v0, v122, s0 dst_sel:DWORD dst_unused:UNUSED_PAD src0_sel:BYTE_0 src1_sel:DWORD
	v_lshrrev_b16_e32 v58, 11, v0
	v_mul_lo_u16_e32 v0, 10, v58
	v_mov_b32_e32 v7, v11
	v_sub_u16_e32 v59, v122, v0
	v_mov_b32_e32 v50, 4
	v_add_u32_e32 v48, 0x51, v122
	ds_write2_b64 v146, v[6:7], v[4:5] offset1:1
	v_lshlrev_b32_sdwa v0, v50, v59 dst_sel:DWORD dst_unused:UNUSED_PAD src0_sel:DWORD src1_sel:BYTE_0
	v_mul_lo_u16_sdwa v4, v48, s0 dst_sel:DWORD dst_unused:UNUSED_PAD src0_sel:BYTE_0 src1_sel:DWORD
	v_add_u32_e32 v49, 0xa2, v122
	s_waitcnt lgkmcnt(0)
	s_barrier
	global_load_dwordx4 v[0:3], v0, s[4:5]
	v_lshrrev_b16_e32 v51, 11, v4
	v_mul_lo_u16_sdwa v8, v49, s0 dst_sel:DWORD dst_unused:UNUSED_PAD src0_sel:BYTE_0 src1_sel:DWORD
	s_mov_b32 s0, 0xcccd
	v_mul_lo_u16_e32 v4, 10, v51
	v_mul_u32_u24_sdwa v16, v74, s0 dst_sel:DWORD dst_unused:UNUSED_PAD src0_sel:WORD_0 src1_sel:DWORD
	v_sub_u16_e32 v52, v48, v4
	v_lshrrev_b16_e32 v54, 11, v8
	v_lshrrev_b32_e32 v69, 19, v16
	v_lshlrev_b32_sdwa v4, v50, v52 dst_sel:DWORD dst_unused:UNUSED_PAD src0_sel:DWORD src1_sel:BYTE_0
	global_load_dwordx4 v[4:7], v4, s[4:5]
	v_mul_lo_u16_e32 v8, 10, v54
	v_mul_lo_u16_e32 v16, 10, v69
	v_sub_u16_e32 v55, v49, v8
	v_sub_u16_e32 v75, v74, v16
	v_lshlrev_b32_sdwa v8, v50, v55 dst_sel:DWORD dst_unused:UNUSED_PAD src0_sel:DWORD src1_sel:BYTE_0
	v_add_u32_e32 v68, 0xf3, v122
	v_lshlrev_b32_e32 v16, 4, v75
	global_load_dwordx4 v[12:15], v8, s[4:5]
	v_mul_u32_u24_sdwa v60, v84, s0 dst_sel:DWORD dst_unused:UNUSED_PAD src0_sel:WORD_0 src1_sel:DWORD
	global_load_dwordx4 v[16:19], v16, s[4:5]
	v_mul_u32_u24_sdwa v8, v68, s0 dst_sel:DWORD dst_unused:UNUSED_PAD src0_sel:WORD_0 src1_sel:DWORD
	v_lshrrev_b32_e32 v56, 19, v8
	v_mul_lo_u16_e32 v8, 10, v56
	v_sub_u16_e32 v57, v68, v8
	v_lshlrev_b32_e32 v8, 4, v57
	global_load_dwordx4 v[8:11], v8, s[4:5]
	v_lshrrev_b32_e32 v90, 19, v60
	v_mul_lo_u16_e32 v60, 10, v90
	v_sub_u16_e32 v91, v84, v60
	v_lshlrev_b32_e32 v60, 4, v91
	global_load_dwordx4 v[60:63], v60, s[4:5]
	v_mul_u32_u24_sdwa v64, v85, s0 dst_sel:DWORD dst_unused:UNUSED_PAD src0_sel:WORD_0 src1_sel:DWORD
	v_lshrrev_b32_e32 v100, 19, v64
	v_mul_lo_u16_e32 v64, 10, v100
	v_mul_u32_u24_sdwa v70, v92, s0 dst_sel:DWORD dst_unused:UNUSED_PAD src0_sel:WORD_0 src1_sel:DWORD
	v_sub_u16_e32 v101, v85, v64
	v_lshrrev_b32_e32 v104, 19, v70
	v_lshlrev_b32_e32 v64, 4, v101
	v_mul_lo_u16_e32 v70, 10, v104
	global_load_dwordx4 v[64:67], v64, s[4:5]
	v_sub_u16_e32 v105, v92, v70
	v_lshlrev_b32_e32 v70, 4, v105
	global_load_dwordx4 v[70:73], v70, s[4:5]
	v_mul_u32_u24_sdwa v76, v93, s0 dst_sel:DWORD dst_unused:UNUSED_PAD src0_sel:WORD_0 src1_sel:DWORD
	v_lshrrev_b32_e32 v118, 19, v76
	v_mul_lo_u16_e32 v76, 10, v118
	v_mul_u32_u24_sdwa v80, v109, s0 dst_sel:DWORD dst_unused:UNUSED_PAD src0_sel:WORD_0 src1_sel:DWORD
	v_sub_u16_e32 v119, v93, v76
	v_lshrrev_b32_e32 v124, 19, v80
	v_lshlrev_b32_e32 v76, 4, v119
	v_mul_lo_u16_e32 v80, 10, v124
	global_load_dwordx4 v[76:79], v76, s[4:5]
	v_sub_u16_e32 v126, v109, v80
	v_lshlrev_b32_e32 v80, 4, v126
	global_load_dwordx4 v[80:83], v80, s[4:5]
	ds_read2_b32 v[86:87], v99 offset0:42 offset1:123
	ds_read2_b32 v[88:89], v95 offset0:84 offset1:165
	s_mov_b32 s6, 0x5040100
	s_movk_i32 s0, 0x78
	s_waitcnt vmcnt(9) lgkmcnt(1)
	v_mul_f32_e32 v123, v86, v1
	v_fma_f32 v123, v46, v0, -v123
	v_mul_f32_e32 v46, v46, v1
	v_fmac_f32_e32 v46, v86, v0
	s_waitcnt lgkmcnt(0)
	v_mul_f32_e32 v0, v88, v3
	v_fma_f32 v86, v44, v2, -v0
	v_mul_f32_e32 v44, v44, v3
	v_fmac_f32_e32 v44, v88, v2
	s_waitcnt vmcnt(8)
	v_mul_f32_e32 v0, v87, v5
	v_mul_f32_e32 v5, v47, v5
	;; [unrolled: 1-line block ×3, first 2 shown]
	v_fma_f32 v88, v47, v4, -v0
	v_fmac_f32_e32 v5, v87, v4
	ds_read2_b32 v[0:1], v103 offset0:76 offset1:157
	v_fma_f32 v4, v45, v6, -v2
	ds_read2_b32 v[2:3], v106 offset0:118 offset1:199
	v_mul_f32_e32 v7, v45, v7
	s_waitcnt vmcnt(7)
	v_mul_f32_e32 v45, v42, v13
	v_fmac_f32_e32 v7, v89, v6
	s_waitcnt lgkmcnt(1)
	v_mul_f32_e32 v6, v0, v13
	v_fmac_f32_e32 v45, v0, v12
	s_waitcnt lgkmcnt(0)
	v_mul_f32_e32 v0, v2, v15
	v_fma_f32 v47, v40, v14, -v0
	v_mul_f32_e32 v87, v40, v15
	s_waitcnt vmcnt(5)
	v_mul_f32_e32 v0, v1, v9
	v_fmac_f32_e32 v87, v2, v14
	v_fma_f32 v89, v43, v8, -v0
	v_mul_f32_e32 v43, v43, v9
	v_mul_f32_e32 v2, v3, v11
	;; [unrolled: 1-line block ×3, first 2 shown]
	v_fmac_f32_e32 v43, v1, v8
	ds_read2_b32 v[0:1], v110 offset0:110 offset1:191
	v_fma_f32 v127, v41, v10, -v2
	v_fmac_f32_e32 v128, v3, v10
	ds_read2_b32 v[2:3], v111 offset0:152 offset1:233
	v_mul_f32_e32 v130, v38, v17
	s_waitcnt lgkmcnt(1)
	v_mul_f32_e32 v8, v0, v17
	v_fmac_f32_e32 v130, v0, v16
	v_mul_f32_e32 v132, v36, v19
	s_waitcnt lgkmcnt(0)
	v_mul_f32_e32 v0, v2, v19
	v_fma_f32 v131, v36, v18, -v0
	s_waitcnt vmcnt(4)
	v_mul_f32_e32 v0, v1, v61
	v_mul_f32_e32 v61, v39, v61
	v_fmac_f32_e32 v132, v2, v18
	v_fma_f32 v133, v39, v60, -v0
	v_fmac_f32_e32 v61, v1, v60
	v_mul_f32_e32 v2, v3, v63
	ds_read2_b32 v[0:1], v112 offset0:16 offset1:97
	v_mul_f32_e32 v63, v37, v63
	v_fma_f32 v60, v37, v62, -v2
	v_fmac_f32_e32 v63, v3, v62
	ds_read2_b32 v[2:3], v113 offset0:58 offset1:139
	v_fma_f32 v129, v38, v16, -v8
	s_waitcnt vmcnt(3) lgkmcnt(1)
	v_mul_f32_e32 v8, v0, v65
	v_mul_f32_e32 v65, v34, v65
	v_fmac_f32_e32 v65, v0, v64
	s_waitcnt lgkmcnt(0)
	v_mul_f32_e32 v0, v2, v67
	v_fma_f32 v62, v34, v64, -v8
	v_fma_f32 v64, v32, v66, -v0
	v_mul_f32_e32 v67, v32, v67
	s_waitcnt vmcnt(2)
	v_mul_f32_e32 v0, v1, v71
	v_mul_f32_e32 v71, v35, v71
	v_fmac_f32_e32 v67, v2, v66
	v_fma_f32 v66, v35, v70, -v0
	v_fmac_f32_e32 v71, v1, v70
	v_mul_f32_e32 v2, v3, v73
	ds_read2_b32 v[0:1], v114 offset0:50 offset1:131
	v_mul_f32_e32 v73, v33, v73
	v_fma_f32 v70, v33, v72, -v2
	v_fmac_f32_e32 v73, v3, v72
	ds_read2_b32 v[2:3], v115 offset0:92 offset1:173
	s_waitcnt vmcnt(1) lgkmcnt(1)
	v_mul_f32_e32 v8, v0, v77
	v_mul_f32_e32 v77, v30, v77
	v_fmac_f32_e32 v77, v0, v76
	v_fma_f32 v72, v30, v76, -v8
	s_waitcnt lgkmcnt(0)
	v_mul_f32_e32 v0, v2, v79
	v_fma_f32 v76, v28, v78, -v0
	v_mul_f32_e32 v79, v28, v79
	s_waitcnt vmcnt(0)
	v_mul_f32_e32 v0, v1, v81
	v_fmac_f32_e32 v79, v2, v78
	v_fma_f32 v78, v31, v80, -v0
	v_mul_f32_e32 v81, v31, v81
	v_mul_f32_e32 v0, v3, v83
	v_mov_b32_e32 v40, 2
	v_fmac_f32_e32 v81, v1, v80
	v_fma_f32 v80, v29, v82, -v0
	v_mul_u32_u24_e32 v0, 0x78, v58
	v_lshlrev_b32_sdwa v1, v40, v59 dst_sel:DWORD dst_unused:UNUSED_PAD src0_sel:DWORD src1_sel:BYTE_0
	v_add3_u32 v58, 0, v0, v1
	v_add_f32_e32 v0, v26, v123
	v_add_f32_e32 v8, v0, v86
	;; [unrolled: 1-line block ×3, first 2 shown]
	v_fma_f32 v9, -0.5, v0, v26
	v_sub_f32_e32 v10, v46, v44
	v_mul_f32_e32 v83, v29, v83
	v_fmamk_f32 v11, v10, 0x3f5db3d7, v9
	v_fmac_f32_e32 v9, 0xbf5db3d7, v10
	v_add_f32_e32 v10, v88, v4
	v_fmac_f32_e32 v83, v3, v82
	ds_read_b32 v59, v96
	ds_read_b32 v82, v97
	;; [unrolled: 1-line block ×6, first 2 shown]
	ds_read2_b32 v[0:1], v94 offset1:81
	ds_read2_b32 v[2:3], v94 offset0:162 offset1:243
	s_waitcnt lgkmcnt(0)
	s_barrier
	ds_write2_b32 v58, v8, v11 offset1:10
	v_add_f32_e32 v8, v27, v88
	v_fmac_f32_e32 v27, -0.5, v10
	v_mul_u32_u24_e32 v10, 0x78, v51
	v_lshlrev_b32_sdwa v11, v40, v52 dst_sel:DWORD dst_unused:UNUSED_PAD src0_sel:DWORD src1_sel:BYTE_0
	ds_write_b32 v58, v9 offset:80
	v_sub_f32_e32 v9, v5, v7
	v_add3_u32 v51, 0, v10, v11
	v_add_f32_e32 v8, v8, v4
	v_fmamk_f32 v10, v9, 0x3f5db3d7, v27
	v_fma_f32 v6, v42, v12, -v6
	ds_write2_b32 v51, v8, v10 offset1:10
	v_fmac_f32_e32 v27, 0xbf5db3d7, v9
	v_mul_u32_u24_e32 v8, 0x78, v54
	v_lshlrev_b32_sdwa v9, v40, v55 dst_sel:DWORD dst_unused:UNUSED_PAD src0_sel:DWORD src1_sel:BYTE_0
	v_add3_u32 v52, 0, v8, v9
	v_add_f32_e32 v9, v6, v47
	v_add_f32_e32 v8, v24, v6
	v_fma_f32 v9, -0.5, v9, v24
	v_sub_f32_e32 v10, v45, v87
	v_add_f32_e32 v8, v8, v47
	v_fmamk_f32 v11, v10, 0x3f5db3d7, v9
	v_fmac_f32_e32 v9, 0xbf5db3d7, v10
	v_add_f32_e32 v10, v89, v127
	ds_write_b32 v51, v27 offset:80
	ds_write2_b32 v52, v8, v11 offset1:10
	v_add_f32_e32 v8, v25, v89
	v_fmac_f32_e32 v25, -0.5, v10
	v_mul_u32_u24_e32 v10, 0x78, v56
	v_lshlrev_b32_e32 v11, 2, v57
	ds_write_b32 v52, v9 offset:80
	v_sub_f32_e32 v9, v43, v128
	v_add3_u32 v54, 0, v10, v11
	v_add_f32_e32 v8, v8, v127
	v_fmamk_f32 v10, v9, 0x3f5db3d7, v25
	v_fmac_f32_e32 v25, 0xbf5db3d7, v9
	v_add_f32_e32 v9, v129, v131
	ds_write2_b32 v54, v8, v10 offset1:10
	v_add_f32_e32 v8, v125, v129
	v_fmac_f32_e32 v125, -0.5, v9
	v_perm_b32 v9, v90, v69, s6
	v_pk_mul_lo_u16 v9, v9, s0 op_sel_hi:[1,0]
	v_lshlrev_b32_e32 v10, 2, v75
	v_and_b32_e32 v11, 0xfff8, v9
	v_add3_u32 v55, 0, v11, v10
	v_sub_f32_e32 v10, v130, v132
	v_add_f32_e32 v8, v8, v131
	v_fmamk_f32 v11, v10, 0x3f5db3d7, v125
	v_fmac_f32_e32 v125, 0xbf5db3d7, v10
	v_add_f32_e32 v10, v133, v60
	ds_write_b32 v54, v25 offset:80
	ds_write2_b32 v55, v8, v11 offset1:10
	v_add_f32_e32 v8, v121, v133
	v_fmac_f32_e32 v121, -0.5, v10
	v_lshrrev_b32_e32 v9, 16, v9
	v_lshlrev_b32_e32 v10, 2, v91
	v_add3_u32 v56, 0, v9, v10
	v_sub_f32_e32 v9, v61, v63
	v_add_f32_e32 v8, v8, v60
	v_fmamk_f32 v10, v9, 0x3f5db3d7, v121
	v_fmac_f32_e32 v121, 0xbf5db3d7, v9
	v_add_f32_e32 v9, v62, v64
	ds_write_b32 v55, v125 offset:80
	ds_write2_b32 v56, v8, v10 offset1:10
	v_add_f32_e32 v8, v120, v62
	v_fmac_f32_e32 v120, -0.5, v9
	v_perm_b32 v9, v104, v100, s6
	v_pk_mul_lo_u16 v9, v9, s0 op_sel_hi:[1,0]
	v_lshlrev_b32_e32 v10, 2, v101
	v_and_b32_e32 v11, 0xfff8, v9
	v_add3_u32 v57, 0, v11, v10
	v_sub_f32_e32 v10, v65, v67
	v_add_f32_e32 v8, v8, v64
	v_fmamk_f32 v11, v10, 0x3f5db3d7, v120
	v_fmac_f32_e32 v120, 0xbf5db3d7, v10
	v_add_f32_e32 v10, v66, v70
	ds_write_b32 v56, v121 offset:80
	ds_write2_b32 v57, v8, v11 offset1:10
	v_add_f32_e32 v8, v117, v66
	v_fmac_f32_e32 v117, -0.5, v10
	v_lshrrev_b32_e32 v9, 16, v9
	v_lshlrev_b32_e32 v10, 2, v105
	v_add3_u32 v69, 0, v9, v10
	v_sub_f32_e32 v9, v71, v73
	v_add_f32_e32 v8, v8, v70
	v_fmamk_f32 v10, v9, 0x3f5db3d7, v117
	v_fmac_f32_e32 v117, 0xbf5db3d7, v9
	v_add_f32_e32 v9, v72, v76
	ds_write_b32 v57, v120 offset:80
	ds_write2_b32 v69, v8, v10 offset1:10
	v_add_f32_e32 v8, v116, v72
	v_fmac_f32_e32 v116, -0.5, v9
	v_perm_b32 v9, v124, v118, s6
	v_pk_mul_lo_u16 v9, v9, s0 op_sel_hi:[1,0]
	v_lshlrev_b32_e32 v10, 2, v119
	v_and_b32_e32 v11, 0xfff8, v9
	v_add3_u32 v75, 0, v11, v10
	v_sub_f32_e32 v10, v77, v79
	v_add_f32_e32 v8, v8, v76
	v_fmamk_f32 v11, v10, 0x3f5db3d7, v116
	v_fmac_f32_e32 v116, 0xbf5db3d7, v10
	v_add_f32_e32 v10, v78, v80
	ds_write_b32 v69, v117 offset:80
	ds_write2_b32 v75, v8, v11 offset1:10
	v_add_f32_e32 v8, v53, v78
	v_fmac_f32_e32 v53, -0.5, v10
	v_lshrrev_b32_e32 v9, 16, v9
	v_lshlrev_b32_e32 v10, 2, v126
	v_add3_u32 v90, 0, v9, v10
	v_sub_f32_e32 v9, v81, v83
	v_add_f32_e32 v8, v8, v80
	v_fmamk_f32 v10, v9, 0x3f5db3d7, v53
	ds_write_b32 v75, v116 offset:80
	ds_write2_b32 v90, v8, v10 offset1:10
	v_add_f32_e32 v8, v0, v46
	v_add_f32_e32 v91, v8, v44
	;; [unrolled: 1-line block ×3, first 2 shown]
	v_sub_f32_e32 v44, v123, v86
	v_fma_f32 v0, -0.5, v8, v0
	v_fmac_f32_e32 v53, 0xbf5db3d7, v9
	v_fmamk_f32 v46, v44, 0xbf5db3d7, v0
	v_fmac_f32_e32 v0, 0x3f5db3d7, v44
	ds_write_b32 v90, v53 offset:80
	s_waitcnt lgkmcnt(0)
	s_barrier
	ds_read_b32 v42, v96
	ds_read_b32 v41, v97
	;; [unrolled: 1-line block ×6, first 2 shown]
	ds_read2_b32 v[10:11], v94 offset1:81
	ds_read2_b32 v[34:35], v99 offset0:42 offset1:123
	ds_read2_b32 v[32:33], v95 offset0:84 offset1:165
	;; [unrolled: 1-line block ×11, first 2 shown]
	s_waitcnt lgkmcnt(0)
	s_barrier
	ds_write_b32 v58, v0 offset:80
	v_add_f32_e32 v0, v1, v5
	v_add_f32_e32 v5, v5, v7
	v_fmac_f32_e32 v1, -0.5, v5
	v_sub_f32_e32 v4, v88, v4
	v_fmamk_f32 v5, v4, 0xbf5db3d7, v1
	v_fmac_f32_e32 v1, 0x3f5db3d7, v4
	ds_write2_b32 v58, v91, v46 offset1:10
	ds_write_b32 v51, v1 offset:80
	v_add_f32_e32 v1, v45, v87
	v_add_f32_e32 v0, v0, v7
	v_sub_f32_e32 v4, v6, v47
	v_fma_f32 v1, -0.5, v1, v2
	ds_write2_b32 v51, v0, v5 offset1:10
	v_add_f32_e32 v0, v2, v45
	v_fmamk_f32 v2, v4, 0xbf5db3d7, v1
	v_fmac_f32_e32 v1, 0x3f5db3d7, v4
	v_add_f32_e32 v0, v0, v87
	ds_write_b32 v52, v1 offset:80
	v_add_f32_e32 v1, v43, v128
	ds_write2_b32 v52, v0, v2 offset1:10
	v_add_f32_e32 v0, v3, v43
	v_fmac_f32_e32 v3, -0.5, v1
	v_sub_f32_e32 v1, v89, v127
	v_add_f32_e32 v0, v0, v128
	v_fmamk_f32 v2, v1, 0xbf5db3d7, v3
	v_fmac_f32_e32 v3, 0x3f5db3d7, v1
	v_add_f32_e32 v1, v130, v132
	ds_write2_b32 v54, v0, v2 offset1:10
	v_add_f32_e32 v0, v59, v130
	v_fmac_f32_e32 v59, -0.5, v1
	v_sub_f32_e32 v1, v129, v131
	v_add_f32_e32 v0, v0, v132
	v_fmamk_f32 v2, v1, 0xbf5db3d7, v59
	v_fmac_f32_e32 v59, 0x3f5db3d7, v1
	v_add_f32_e32 v1, v61, v63
	ds_write_b32 v54, v3 offset:80
	ds_write2_b32 v55, v0, v2 offset1:10
	v_add_f32_e32 v0, v82, v61
	v_fmac_f32_e32 v82, -0.5, v1
	v_sub_f32_e32 v1, v133, v60
	v_add_f32_e32 v0, v0, v63
	v_fmamk_f32 v2, v1, 0xbf5db3d7, v82
	v_fmac_f32_e32 v82, 0x3f5db3d7, v1
	v_add_f32_e32 v1, v65, v67
	ds_write_b32 v55, v59 offset:80
	;; [unrolled: 9-line block ×4, first 2 shown]
	ds_write2_b32 v69, v0, v2 offset1:10
	v_add_f32_e32 v0, v136, v77
	v_fmac_f32_e32 v136, -0.5, v1
	v_sub_f32_e32 v1, v72, v76
	v_add_f32_e32 v3, v81, v83
	v_add_f32_e32 v0, v0, v79
	v_fmamk_f32 v2, v1, 0xbf5db3d7, v136
	v_fmac_f32_e32 v136, 0x3f5db3d7, v1
	v_add_f32_e32 v1, v137, v81
	v_fmac_f32_e32 v137, -0.5, v3
	v_sub_f32_e32 v3, v78, v80
	s_movk_i32 s0, 0x89
	ds_write_b32 v69, v135 offset:80
	v_add_f32_e32 v1, v1, v83
	v_fmamk_f32 v4, v3, 0xbf5db3d7, v137
	v_fmac_f32_e32 v137, 0x3f5db3d7, v3
	ds_write2_b32 v75, v0, v2 offset1:10
	ds_write_b32 v75, v136 offset:80
	ds_write2_b32 v90, v1, v4 offset1:10
	ds_write_b32 v90, v137 offset:80
	v_mul_lo_u16_sdwa v0, v122, s0 dst_sel:DWORD dst_unused:UNUSED_PAD src0_sel:BYTE_0 src1_sel:DWORD
	v_lshrrev_b16_e32 v45, 12, v0
	v_mul_lo_u16_e32 v0, 30, v45
	v_sub_u16_e32 v46, v122, v0
	v_mul_lo_u16_sdwa v4, v48, s0 dst_sel:DWORD dst_unused:UNUSED_PAD src0_sel:BYTE_0 src1_sel:DWORD
	v_lshlrev_b32_sdwa v0, v50, v46 dst_sel:DWORD dst_unused:UNUSED_PAD src0_sel:DWORD src1_sel:BYTE_0
	v_lshrrev_b16_e32 v43, 12, v4
	s_waitcnt lgkmcnt(0)
	s_barrier
	global_load_dwordx4 v[0:3], v0, s[4:5] offset:160
	v_mul_lo_u16_e32 v4, 30, v43
	v_mul_lo_u16_sdwa v47, v49, s0 dst_sel:DWORD dst_unused:UNUSED_PAD src0_sel:BYTE_0 src1_sel:DWORD
	s_mov_b32 s0, 0x8889
	v_sub_u16_e32 v44, v48, v4
	v_mul_u32_u24_sdwa v62, v74, s0 dst_sel:DWORD dst_unused:UNUSED_PAD src0_sel:WORD_0 src1_sel:DWORD
	v_lshlrev_b32_sdwa v4, v50, v44 dst_sel:DWORD dst_unused:UNUSED_PAD src0_sel:DWORD src1_sel:BYTE_0
	global_load_dwordx4 v[4:7], v4, s[4:5] offset:160
	v_lshrrev_b16_e32 v47, 12, v47
	v_lshrrev_b32_e32 v69, 20, v62
	v_mul_lo_u16_e32 v51, 30, v47
	v_mul_lo_u16_e32 v62, 30, v69
	v_sub_u16_e32 v51, v49, v51
	v_sub_u16_e32 v75, v74, v62
	v_lshlrev_b32_sdwa v52, v50, v51 dst_sel:DWORD dst_unused:UNUSED_PAD src0_sel:DWORD src1_sel:BYTE_0
	v_lshlrev_b32_e32 v62, 4, v75
	global_load_dwordx4 v[54:57], v52, s[4:5] offset:160
	v_mul_u32_u24_sdwa v66, v84, s0 dst_sel:DWORD dst_unused:UNUSED_PAD src0_sel:WORD_0 src1_sel:DWORD
	global_load_dwordx4 v[62:65], v62, s[4:5] offset:160
	v_mul_u32_u24_sdwa v52, v68, s0 dst_sel:DWORD dst_unused:UNUSED_PAD src0_sel:WORD_0 src1_sel:DWORD
	v_lshrrev_b32_e32 v52, 20, v52
	v_mul_lo_u16_e32 v53, 30, v52
	v_sub_u16_e32 v53, v68, v53
	v_lshlrev_b32_e32 v58, 4, v53
	global_load_dwordx4 v[58:61], v58, s[4:5] offset:160
	v_lshrrev_b32_e32 v100, 20, v66
	v_mul_lo_u16_e32 v66, 30, v100
	v_sub_u16_e32 v101, v84, v66
	v_lshlrev_b32_e32 v66, 4, v101
	global_load_dwordx4 v[70:73], v66, s[4:5] offset:160
	v_mul_u32_u24_sdwa v66, v85, s0 dst_sel:DWORD dst_unused:UNUSED_PAD src0_sel:WORD_0 src1_sel:DWORD
	v_mul_u32_u24_sdwa v86, v93, s0 dst_sel:DWORD dst_unused:UNUSED_PAD src0_sel:WORD_0 src1_sel:DWORD
	v_lshrrev_b32_e32 v104, 20, v66
	v_lshrrev_b32_e32 v123, 20, v86
	v_mul_lo_u16_e32 v66, 30, v104
	v_mul_lo_u16_e32 v86, 30, v123
	v_sub_u16_e32 v105, v85, v66
	v_sub_u16_e32 v124, v93, v86
	v_lshlrev_b32_e32 v66, 4, v105
	v_lshlrev_b32_e32 v86, 4, v124
	global_load_dwordx4 v[76:79], v66, s[4:5] offset:160
	v_mul_u32_u24_sdwa v116, v109, s0 dst_sel:DWORD dst_unused:UNUSED_PAD src0_sel:WORD_0 src1_sel:DWORD
	global_load_dwordx4 v[86:89], v86, s[4:5] offset:160
	v_mul_u32_u24_sdwa v66, v92, s0 dst_sel:DWORD dst_unused:UNUSED_PAD src0_sel:WORD_0 src1_sel:DWORD
	v_lshrrev_b32_e32 v120, 20, v66
	v_mul_lo_u16_e32 v66, 30, v120
	v_sub_u16_e32 v121, v92, v66
	v_lshlrev_b32_e32 v66, 4, v121
	global_load_dwordx4 v[80:83], v66, s[4:5] offset:160
	v_lshrrev_b32_e32 v126, 20, v116
	v_mul_lo_u16_e32 v116, 30, v126
	v_sub_u16_e32 v127, v109, v116
	v_lshlrev_b32_e32 v116, 4, v127
	global_load_dwordx4 v[116:119], v116, s[4:5] offset:160
	ds_read2_b32 v[66:67], v99 offset0:42 offset1:123
	ds_read2_b32 v[90:91], v95 offset0:84 offset1:165
	s_movk_i32 s0, 0x168
	s_waitcnt vmcnt(9) lgkmcnt(1)
	v_mul_f32_e32 v125, v66, v1
	v_fma_f32 v125, v34, v0, -v125
	v_mul_f32_e32 v34, v34, v1
	v_fmac_f32_e32 v34, v66, v0
	s_waitcnt lgkmcnt(0)
	v_mul_f32_e32 v0, v90, v3
	v_fma_f32 v66, v32, v2, -v0
	v_mul_f32_e32 v32, v32, v3
	s_waitcnt vmcnt(8)
	v_mul_f32_e32 v0, v67, v5
	v_fmac_f32_e32 v32, v90, v2
	v_fma_f32 v90, v35, v4, -v0
	v_mul_f32_e32 v5, v35, v5
	v_mul_f32_e32 v2, v91, v7
	ds_read2_b32 v[0:1], v103 offset0:76 offset1:157
	v_fmac_f32_e32 v5, v67, v4
	v_fma_f32 v4, v33, v6, -v2
	ds_read2_b32 v[2:3], v106 offset0:118 offset1:199
	v_mul_f32_e32 v7, v33, v7
	v_fmac_f32_e32 v7, v91, v6
	s_waitcnt vmcnt(7) lgkmcnt(1)
	v_mul_f32_e32 v6, v0, v55
	v_mul_f32_e32 v55, v30, v55
	v_fmac_f32_e32 v55, v0, v54
	s_waitcnt lgkmcnt(0)
	v_mul_f32_e32 v0, v2, v57
	v_fma_f32 v6, v30, v54, -v6
	v_fma_f32 v54, v28, v56, -v0
	v_mul_f32_e32 v57, v28, v57
	s_waitcnt vmcnt(5)
	v_mul_f32_e32 v0, v1, v59
	v_mul_f32_e32 v59, v31, v59
	v_fmac_f32_e32 v57, v2, v56
	v_fma_f32 v56, v31, v58, -v0
	v_fmac_f32_e32 v59, v1, v58
	v_mul_f32_e32 v2, v3, v61
	ds_read2_b32 v[0:1], v110 offset0:110 offset1:191
	v_mul_f32_e32 v61, v29, v61
	v_fma_f32 v58, v29, v60, -v2
	v_fmac_f32_e32 v61, v3, v60
	ds_read2_b32 v[2:3], v111 offset0:152 offset1:233
	s_waitcnt lgkmcnt(1)
	v_mul_f32_e32 v28, v0, v63
	v_mul_f32_e32 v63, v26, v63
	v_fmac_f32_e32 v63, v0, v62
	v_fma_f32 v60, v26, v62, -v28
	s_waitcnt lgkmcnt(0)
	v_mul_f32_e32 v0, v2, v65
	v_mul_f32_e32 v65, v24, v65
	v_fma_f32 v62, v24, v64, -v0
	v_fmac_f32_e32 v65, v2, v64
	s_waitcnt vmcnt(4)
	v_mul_f32_e32 v0, v1, v71
	v_mul_f32_e32 v67, v27, v71
	;; [unrolled: 1-line block ×4, first 2 shown]
	v_fma_f32 v64, v27, v70, -v0
	v_fmac_f32_e32 v67, v1, v70
	ds_read2_b32 v[0:1], v112 offset0:16 offset1:97
	v_fma_f32 v70, v25, v72, -v2
	v_fmac_f32_e32 v71, v3, v72
	ds_read2_b32 v[2:3], v113 offset0:58 offset1:139
	s_waitcnt vmcnt(3)
	v_mul_f32_e32 v73, v18, v77
	s_waitcnt lgkmcnt(1)
	v_mul_f32_e32 v24, v0, v77
	v_fmac_f32_e32 v73, v0, v76
	v_mul_f32_e32 v77, v16, v79
	s_waitcnt lgkmcnt(0)
	v_mul_f32_e32 v0, v2, v79
	v_fma_f32 v72, v18, v76, -v24
	v_fma_f32 v76, v16, v78, -v0
	v_fmac_f32_e32 v77, v2, v78
	s_waitcnt vmcnt(1)
	v_mul_f32_e32 v0, v1, v81
	v_mul_f32_e32 v79, v19, v81
	;; [unrolled: 1-line block ×4, first 2 shown]
	v_fma_f32 v78, v19, v80, -v0
	v_fmac_f32_e32 v79, v1, v80
	ds_read2_b32 v[0:1], v114 offset0:50 offset1:131
	v_fma_f32 v80, v17, v82, -v2
	v_fmac_f32_e32 v81, v3, v82
	ds_read2_b32 v[2:3], v115 offset0:92 offset1:173
	v_mul_f32_e32 v83, v14, v87
	s_waitcnt lgkmcnt(1)
	v_mul_f32_e32 v16, v0, v87
	v_fmac_f32_e32 v83, v0, v86
	v_fma_f32 v82, v14, v86, -v16
	s_waitcnt lgkmcnt(0)
	v_mul_f32_e32 v0, v2, v89
	v_fma_f32 v86, v12, v88, -v0
	v_mul_f32_e32 v87, v12, v89
	s_waitcnt vmcnt(0)
	v_mul_f32_e32 v0, v1, v117
	v_fmac_f32_e32 v87, v2, v88
	v_fma_f32 v88, v15, v116, -v0
	v_mul_f32_e32 v89, v15, v117
	v_mul_f32_e32 v0, v3, v119
	v_fmac_f32_e32 v89, v1, v116
	v_fma_f32 v91, v13, v118, -v0
	v_mul_u32_u24_e32 v0, 0x168, v45
	v_lshlrev_b32_sdwa v1, v40, v46 dst_sel:DWORD dst_unused:UNUSED_PAD src0_sel:DWORD src1_sel:BYTE_0
	v_add3_u32 v117, 0, v0, v1
	v_add_f32_e32 v0, v10, v125
	v_add_f32_e32 v12, v0, v66
	;; [unrolled: 1-line block ×3, first 2 shown]
	v_mul_f32_e32 v116, v13, v119
	v_fma_f32 v10, -0.5, v0, v10
	v_sub_f32_e32 v13, v34, v32
	v_fmamk_f32 v14, v13, 0x3f5db3d7, v10
	v_fmac_f32_e32 v10, 0xbf5db3d7, v13
	v_add_f32_e32 v13, v90, v4
	v_fmac_f32_e32 v116, v3, v118
	ds_read_b32 v118, v96
	ds_read_b32 v119, v97
	;; [unrolled: 1-line block ×6, first 2 shown]
	ds_read2_b32 v[0:1], v94 offset1:81
	ds_read2_b32 v[2:3], v94 offset0:162 offset1:243
	s_waitcnt lgkmcnt(0)
	s_barrier
	ds_write2_b32 v117, v12, v14 offset1:30
	v_add_f32_e32 v12, v11, v90
	v_fmac_f32_e32 v11, -0.5, v13
	ds_write_b32 v117, v10 offset:240
	v_mul_u32_u24_e32 v10, 0x168, v43
	v_lshlrev_b32_sdwa v13, v40, v44 dst_sel:DWORD dst_unused:UNUSED_PAD src0_sel:DWORD src1_sel:BYTE_0
	v_add3_u32 v10, 0, v10, v13
	v_sub_f32_e32 v13, v5, v7
	v_add_f32_e32 v12, v12, v4
	v_fmamk_f32 v14, v13, 0x3f5db3d7, v11
	v_fmac_f32_e32 v11, 0xbf5db3d7, v13
	ds_write2_b32 v10, v12, v14 offset1:30
	ds_write_b32 v10, v11 offset:240
	v_mul_u32_u24_e32 v11, 0x168, v47
	v_lshlrev_b32_sdwa v12, v40, v51 dst_sel:DWORD dst_unused:UNUSED_PAD src0_sel:DWORD src1_sel:BYTE_0
	v_add_f32_e32 v13, v6, v54
	v_add3_u32 v11, 0, v11, v12
	v_add_f32_e32 v12, v8, v6
	v_fma_f32 v8, -0.5, v13, v8
	v_sub_f32_e32 v13, v55, v57
	v_add_f32_e32 v12, v12, v54
	v_fmamk_f32 v14, v13, 0x3f5db3d7, v8
	v_fmac_f32_e32 v8, 0xbf5db3d7, v13
	v_add_f32_e32 v13, v56, v58
	ds_write2_b32 v11, v12, v14 offset1:30
	v_add_f32_e32 v12, v9, v56
	v_fmac_f32_e32 v9, -0.5, v13
	ds_write_b32 v11, v8 offset:240
	v_mul_u32_u24_e32 v8, 0x168, v52
	v_lshlrev_b32_e32 v13, 2, v53
	v_add3_u32 v8, 0, v8, v13
	v_sub_f32_e32 v13, v59, v61
	v_add_f32_e32 v12, v12, v58
	v_fmamk_f32 v14, v13, 0x3f5db3d7, v9
	ds_write2_b32 v8, v12, v14 offset1:30
	v_fmac_f32_e32 v9, 0xbf5db3d7, v13
	v_add_f32_e32 v12, v60, v62
	ds_write_b32 v8, v9 offset:240
	v_add_f32_e32 v9, v42, v60
	v_fmac_f32_e32 v42, -0.5, v12
	v_perm_b32 v12, v100, v69, s6
	v_pk_mul_lo_u16 v12, v12, s0 op_sel_hi:[1,0]
	v_lshlrev_b32_e32 v13, 2, v75
	v_and_b32_e32 v14, 0xfff8, v12
	v_add3_u32 v47, 0, v14, v13
	v_sub_f32_e32 v13, v63, v65
	v_add_f32_e32 v9, v9, v62
	v_fmamk_f32 v14, v13, 0x3f5db3d7, v42
	v_fmac_f32_e32 v42, 0xbf5db3d7, v13
	v_add_f32_e32 v13, v64, v70
	ds_write2_b32 v47, v9, v14 offset1:30
	v_add_f32_e32 v9, v41, v64
	v_fmac_f32_e32 v41, -0.5, v13
	v_lshrrev_b32_e32 v12, 16, v12
	v_lshlrev_b32_e32 v13, 2, v101
	v_add3_u32 v51, 0, v12, v13
	v_sub_f32_e32 v12, v67, v71
	v_add_f32_e32 v9, v9, v70
	v_fmamk_f32 v13, v12, 0x3f5db3d7, v41
	v_fmac_f32_e32 v41, 0xbf5db3d7, v12
	v_add_f32_e32 v12, v72, v76
	ds_write_b32 v47, v42 offset:240
	ds_write2_b32 v51, v9, v13 offset1:30
	v_add_f32_e32 v9, v39, v72
	v_fmac_f32_e32 v39, -0.5, v12
	v_perm_b32 v12, v120, v104, s6
	v_pk_mul_lo_u16 v12, v12, s0 op_sel_hi:[1,0]
	v_lshlrev_b32_e32 v13, 2, v105
	v_and_b32_e32 v14, 0xfff8, v12
	v_add3_u32 v52, 0, v14, v13
	v_sub_f32_e32 v13, v73, v77
	v_add_f32_e32 v9, v9, v76
	v_fmamk_f32 v14, v13, 0x3f5db3d7, v39
	v_fmac_f32_e32 v39, 0xbf5db3d7, v13
	v_add_f32_e32 v13, v78, v80
	ds_write_b32 v51, v41 offset:240
	ds_write2_b32 v52, v9, v14 offset1:30
	v_add_f32_e32 v9, v38, v78
	v_fmac_f32_e32 v38, -0.5, v13
	v_lshrrev_b32_e32 v12, 16, v12
	v_lshlrev_b32_e32 v13, 2, v121
	v_add3_u32 v53, 0, v12, v13
	v_sub_f32_e32 v12, v79, v81
	v_add_f32_e32 v9, v9, v80
	v_fmamk_f32 v13, v12, 0x3f5db3d7, v38
	v_fmac_f32_e32 v38, 0xbf5db3d7, v12
	v_add_f32_e32 v12, v82, v86
	ds_write_b32 v52, v39 offset:240
	ds_write2_b32 v53, v9, v13 offset1:30
	v_add_f32_e32 v9, v37, v82
	v_fmac_f32_e32 v37, -0.5, v12
	v_perm_b32 v12, v126, v123, s6
	v_pk_mul_lo_u16 v12, v12, s0 op_sel_hi:[1,0]
	v_lshlrev_b32_e32 v13, 2, v124
	v_and_b32_e32 v14, 0xfff8, v12
	v_add3_u32 v69, 0, v14, v13
	v_sub_f32_e32 v13, v83, v87
	v_add_f32_e32 v9, v9, v86
	v_fmamk_f32 v14, v13, 0x3f5db3d7, v37
	v_fmac_f32_e32 v37, 0xbf5db3d7, v13
	v_add_f32_e32 v13, v88, v91
	ds_write_b32 v53, v38 offset:240
	ds_write2_b32 v69, v9, v14 offset1:30
	v_add_f32_e32 v9, v36, v88
	v_fmac_f32_e32 v36, -0.5, v13
	v_lshrrev_b32_e32 v12, 16, v12
	v_lshlrev_b32_e32 v13, 2, v127
	v_add3_u32 v75, 0, v12, v13
	v_sub_f32_e32 v12, v89, v116
	v_add_f32_e32 v9, v9, v91
	v_fmamk_f32 v13, v12, 0x3f5db3d7, v36
	ds_write_b32 v69, v37 offset:240
	ds_write2_b32 v75, v9, v13 offset1:30
	v_add_f32_e32 v13, v34, v32
	v_add_f32_e32 v9, v0, v34
	v_sub_f32_e32 v66, v125, v66
	v_fma_f32 v0, -0.5, v13, v0
	v_fmac_f32_e32 v36, 0xbf5db3d7, v12
	v_fmamk_f32 v100, v66, 0xbf5db3d7, v0
	v_fmac_f32_e32 v0, 0x3f5db3d7, v66
	v_add_f32_e32 v9, v9, v32
	ds_write_b32 v75, v36 offset:240
	s_waitcnt lgkmcnt(0)
	s_barrier
	ds_read_b32 v46, v96
	ds_read_b32 v45, v97
	ds_read_b32 v44, v98
	ds_read_b32 v43, v102
	ds_read_b32 v42, v107
	ds_read_b32 v41, v108
	ds_read2_b32 v[14:15], v94 offset1:81
	ds_read2_b32 v[38:39], v99 offset0:42 offset1:123
	ds_read2_b32 v[36:37], v95 offset0:84 offset1:165
	;; [unrolled: 1-line block ×11, first 2 shown]
	s_waitcnt lgkmcnt(0)
	s_barrier
	ds_write_b32 v117, v0 offset:240
	v_add_f32_e32 v0, v1, v5
	v_add_f32_e32 v5, v5, v7
	v_fmac_f32_e32 v1, -0.5, v5
	v_sub_f32_e32 v4, v90, v4
	v_fmamk_f32 v5, v4, 0xbf5db3d7, v1
	v_fmac_f32_e32 v1, 0x3f5db3d7, v4
	ds_write2_b32 v117, v9, v100 offset1:30
	ds_write_b32 v10, v1 offset:240
	v_add_f32_e32 v1, v55, v57
	v_add_f32_e32 v0, v0, v7
	v_sub_f32_e32 v4, v6, v54
	v_fma_f32 v1, -0.5, v1, v2
	ds_write2_b32 v10, v0, v5 offset1:30
	v_add_f32_e32 v0, v2, v55
	v_fmamk_f32 v2, v4, 0xbf5db3d7, v1
	v_fmac_f32_e32 v1, 0x3f5db3d7, v4
	v_add_f32_e32 v0, v0, v57
	ds_write_b32 v11, v1 offset:240
	v_add_f32_e32 v1, v59, v61
	ds_write2_b32 v11, v0, v2 offset1:30
	v_add_f32_e32 v0, v3, v59
	v_fmac_f32_e32 v3, -0.5, v1
	v_sub_f32_e32 v1, v56, v58
	v_add_f32_e32 v0, v0, v61
	v_fmamk_f32 v2, v1, 0xbf5db3d7, v3
	v_fmac_f32_e32 v3, 0x3f5db3d7, v1
	v_add_f32_e32 v1, v63, v65
	ds_write2_b32 v8, v0, v2 offset1:30
	v_add_f32_e32 v0, v118, v63
	v_fmac_f32_e32 v118, -0.5, v1
	v_sub_f32_e32 v1, v60, v62
	v_add_f32_e32 v0, v0, v65
	v_fmamk_f32 v2, v1, 0xbf5db3d7, v118
	v_fmac_f32_e32 v118, 0x3f5db3d7, v1
	v_add_f32_e32 v1, v67, v71
	ds_write_b32 v8, v3 offset:240
	ds_write2_b32 v47, v0, v2 offset1:30
	v_add_f32_e32 v0, v119, v67
	v_fmac_f32_e32 v119, -0.5, v1
	v_sub_f32_e32 v1, v64, v70
	v_add_f32_e32 v0, v0, v71
	v_fmamk_f32 v2, v1, 0xbf5db3d7, v119
	v_fmac_f32_e32 v119, 0x3f5db3d7, v1
	v_add_f32_e32 v1, v73, v77
	ds_write_b32 v47, v118 offset:240
	;; [unrolled: 9-line block ×4, first 2 shown]
	ds_write2_b32 v53, v0, v2 offset1:30
	v_add_f32_e32 v0, v130, v83
	v_fmac_f32_e32 v130, -0.5, v1
	v_sub_f32_e32 v1, v82, v86
	v_add_f32_e32 v3, v89, v116
	v_add_f32_e32 v0, v0, v87
	v_fmamk_f32 v2, v1, 0xbf5db3d7, v130
	v_fmac_f32_e32 v130, 0x3f5db3d7, v1
	v_add_f32_e32 v1, v131, v89
	v_fmac_f32_e32 v131, -0.5, v3
	v_sub_f32_e32 v3, v88, v91
	ds_write_b32 v53, v129 offset:240
	v_add_f32_e32 v1, v1, v116
	v_fmamk_f32 v4, v3, 0xbf5db3d7, v131
	v_fmac_f32_e32 v131, 0x3f5db3d7, v3
	ds_write2_b32 v69, v0, v2 offset1:30
	ds_write_b32 v69, v130 offset:240
	ds_write2_b32 v75, v1, v4 offset1:30
	ds_write_b32 v75, v131 offset:240
	v_add_u32_e32 v0, -9, v122
	v_cmp_gt_u32_e64 s[0:1], 9, v122
	v_lshlrev_b32_e32 v8, 1, v122
	v_mov_b32_e32 v9, 0
	v_cndmask_b32_e64 v47, v0, v48, s[0:1]
	s_movk_i32 s0, 0xb7
	v_lshl_add_u64 v[10:11], v[8:9], 3, s[4:5]
	v_mul_lo_u16_sdwa v51, v49, s0 dst_sel:DWORD dst_unused:UNUSED_PAD src0_sel:BYTE_0 src1_sel:DWORD
	s_movk_i32 s0, 0x2d83
	s_waitcnt lgkmcnt(0)
	s_barrier
	global_load_dwordx4 v[4:7], v[10:11], off offset:640
	v_lshlrev_b32_e32 v0, 1, v47
	v_mov_b32_e32 v1, v9
	v_mul_u32_u24_sdwa v62, v74, s0 dst_sel:DWORD dst_unused:UNUSED_PAD src0_sel:WORD_0 src1_sel:DWORD
	v_lshl_add_u64 v[0:1], v[0:1], 3, s[4:5]
	global_load_dwordx4 v[0:3], v[0:1], off offset:640
	v_lshrrev_b16_e32 v51, 14, v51
	v_lshrrev_b32_e32 v69, 20, v62
	v_mul_lo_u16_e32 v52, 0x5a, v51
	v_mul_lo_u16_e32 v62, 0x5a, v69
	v_sub_u16_e32 v52, v49, v52
	v_sub_u16_e32 v75, v74, v62
	v_lshlrev_b32_sdwa v50, v50, v52 dst_sel:DWORD dst_unused:UNUSED_PAD src0_sel:DWORD src1_sel:BYTE_0
	v_lshlrev_b32_e32 v62, 4, v75
	global_load_dwordx4 v[54:57], v50, s[4:5] offset:640
	v_mul_u32_u24_sdwa v66, v84, s0 dst_sel:DWORD dst_unused:UNUSED_PAD src0_sel:WORD_0 src1_sel:DWORD
	global_load_dwordx4 v[62:65], v62, s[4:5] offset:640
	v_mul_u32_u24_sdwa v50, v68, s0 dst_sel:DWORD dst_unused:UNUSED_PAD src0_sel:WORD_0 src1_sel:DWORD
	v_lshrrev_b32_e32 v53, 20, v50
	v_mul_lo_u16_e32 v50, 0x5a, v53
	v_sub_u16_e32 v50, v68, v50
	v_lshlrev_b32_e32 v58, 4, v50
	global_load_dwordx4 v[58:61], v58, s[4:5] offset:640
	v_lshrrev_b32_e32 v100, 20, v66
	v_mul_lo_u16_e32 v66, 0x5a, v100
	v_sub_u16_e32 v101, v84, v66
	v_lshlrev_b32_e32 v66, 4, v101
	global_load_dwordx4 v[70:73], v66, s[4:5] offset:640
	v_mul_u32_u24_sdwa v66, v85, s0 dst_sel:DWORD dst_unused:UNUSED_PAD src0_sel:WORD_0 src1_sel:DWORD
	v_mul_u32_u24_sdwa v86, v93, s0 dst_sel:DWORD dst_unused:UNUSED_PAD src0_sel:WORD_0 src1_sel:DWORD
	v_lshrrev_b32_e32 v104, 20, v66
	v_lshrrev_b32_e32 v123, 20, v86
	v_mul_lo_u16_e32 v66, 0x5a, v104
	v_mul_lo_u16_e32 v86, 0x5a, v123
	v_sub_u16_e32 v105, v85, v66
	v_sub_u16_e32 v124, v93, v86
	v_lshlrev_b32_e32 v66, 4, v105
	v_lshlrev_b32_e32 v86, 4, v124
	global_load_dwordx4 v[76:79], v66, s[4:5] offset:640
	v_mul_u32_u24_sdwa v116, v109, s0 dst_sel:DWORD dst_unused:UNUSED_PAD src0_sel:WORD_0 src1_sel:DWORD
	global_load_dwordx4 v[86:89], v86, s[4:5] offset:640
	v_mul_u32_u24_sdwa v66, v92, s0 dst_sel:DWORD dst_unused:UNUSED_PAD src0_sel:WORD_0 src1_sel:DWORD
	v_lshrrev_b32_e32 v120, 20, v66
	v_mul_lo_u16_e32 v66, 0x5a, v120
	v_sub_u16_e32 v121, v92, v66
	v_lshlrev_b32_e32 v66, 4, v121
	global_load_dwordx4 v[80:83], v66, s[4:5] offset:640
	v_lshrrev_b32_e32 v116, 20, v116
	v_mul_lo_u16_e32 v116, 0x5a, v116
	v_sub_u16_e32 v126, v109, v116
	v_lshlrev_b32_e32 v116, 4, v126
	global_load_dwordx4 v[116:119], v116, s[4:5] offset:640
	ds_read2_b32 v[66:67], v99 offset0:42 offset1:123
	ds_read2_b32 v[90:91], v95 offset0:84 offset1:165
	v_cmp_lt_u32_e64 s[0:1], 8, v122
	s_waitcnt vmcnt(9) lgkmcnt(1)
	v_mul_f32_e32 v125, v66, v5
	v_mul_f32_e32 v5, v38, v5
	v_fma_f32 v125, v38, v4, -v125
	v_fmac_f32_e32 v5, v66, v4
	s_waitcnt lgkmcnt(0)
	v_mul_f32_e32 v4, v90, v7
	v_mul_f32_e32 v7, v36, v7
	v_fma_f32 v4, v36, v6, -v4
	v_fmac_f32_e32 v7, v90, v6
	s_waitcnt vmcnt(8)
	v_mul_f32_e32 v6, v67, v1
	v_mul_f32_e32 v90, v39, v1
	v_fma_f32 v66, v39, v0, -v6
	v_fmac_f32_e32 v90, v67, v0
	v_mul_f32_e32 v6, v91, v3
	ds_read2_b32 v[0:1], v103 offset0:76 offset1:157
	v_mul_f32_e32 v127, v37, v3
	v_fma_f32 v67, v37, v2, -v6
	v_fmac_f32_e32 v127, v91, v2
	ds_read2_b32 v[2:3], v106 offset0:118 offset1:199
	s_waitcnt vmcnt(7) lgkmcnt(1)
	v_mul_f32_e32 v6, v0, v55
	v_mul_f32_e32 v55, v34, v55
	v_fmac_f32_e32 v55, v0, v54
	v_fma_f32 v91, v34, v54, -v6
	s_waitcnt lgkmcnt(0)
	v_mul_f32_e32 v0, v2, v57
	v_fma_f32 v54, v32, v56, -v0
	v_mul_f32_e32 v57, v32, v57
	s_waitcnt vmcnt(5)
	v_mul_f32_e32 v0, v1, v59
	v_mul_f32_e32 v59, v35, v59
	v_fmac_f32_e32 v57, v2, v56
	v_fma_f32 v56, v35, v58, -v0
	v_fmac_f32_e32 v59, v1, v58
	v_mul_f32_e32 v2, v3, v61
	ds_read2_b32 v[0:1], v110 offset0:110 offset1:191
	v_mul_f32_e32 v61, v33, v61
	v_fma_f32 v58, v33, v60, -v2
	v_fmac_f32_e32 v61, v3, v60
	ds_read2_b32 v[2:3], v111 offset0:152 offset1:233
	s_waitcnt lgkmcnt(1)
	v_mul_f32_e32 v6, v0, v63
	v_mul_f32_e32 v63, v30, v63
	v_fmac_f32_e32 v63, v0, v62
	v_fma_f32 v60, v30, v62, -v6
	s_waitcnt lgkmcnt(0)
	v_mul_f32_e32 v0, v2, v65
	v_fma_f32 v62, v28, v64, -v0
	v_mul_f32_e32 v65, v28, v65
	s_waitcnt vmcnt(4)
	v_mul_f32_e32 v0, v1, v71
	v_mul_f32_e32 v71, v31, v71
	v_fmac_f32_e32 v65, v2, v64
	v_fma_f32 v64, v31, v70, -v0
	v_fmac_f32_e32 v71, v1, v70
	v_mul_f32_e32 v2, v3, v73
	ds_read2_b32 v[0:1], v112 offset0:16 offset1:97
	v_mul_f32_e32 v73, v29, v73
	v_fma_f32 v70, v29, v72, -v2
	v_fmac_f32_e32 v73, v3, v72
	ds_read2_b32 v[2:3], v113 offset0:58 offset1:139
	s_waitcnt vmcnt(3) lgkmcnt(1)
	v_mul_f32_e32 v6, v0, v77
	v_mul_f32_e32 v77, v26, v77
	v_fmac_f32_e32 v77, v0, v76
	v_fma_f32 v72, v26, v76, -v6
	s_waitcnt lgkmcnt(0)
	v_mul_f32_e32 v0, v2, v79
	v_fma_f32 v76, v24, v78, -v0
	v_mul_f32_e32 v79, v24, v79
	s_waitcnt vmcnt(1)
	v_mul_f32_e32 v0, v1, v81
	v_mul_f32_e32 v81, v27, v81
	v_fmac_f32_e32 v79, v2, v78
	v_fma_f32 v78, v27, v80, -v0
	v_fmac_f32_e32 v81, v1, v80
	v_mul_f32_e32 v2, v3, v83
	ds_read2_b32 v[0:1], v114 offset0:50 offset1:131
	v_mul_f32_e32 v83, v25, v83
	v_fma_f32 v80, v25, v82, -v2
	v_fmac_f32_e32 v83, v3, v82
	ds_read2_b32 v[2:3], v115 offset0:92 offset1:173
	s_waitcnt lgkmcnt(1)
	v_mul_f32_e32 v6, v0, v87
	v_mul_f32_e32 v87, v18, v87
	v_fmac_f32_e32 v87, v0, v86
	v_fma_f32 v82, v18, v86, -v6
	s_waitcnt lgkmcnt(0)
	v_mul_f32_e32 v0, v2, v89
	v_fma_f32 v86, v16, v88, -v0
	s_waitcnt vmcnt(0)
	v_mul_f32_e32 v0, v1, v117
	v_mul_f32_e32 v117, v19, v117
	;; [unrolled: 1-line block ×3, first 2 shown]
	v_fmac_f32_e32 v117, v1, v116
	v_add_f32_e32 v1, v125, v4
	v_fmac_f32_e32 v89, v2, v88
	v_fma_f32 v88, v19, v116, -v0
	v_mul_f32_e32 v0, v3, v119
	v_mul_f32_e32 v119, v17, v119
	v_fma_f32 v1, -0.5, v1, v14
	v_sub_f32_e32 v2, v5, v7
	v_fma_f32 v116, v17, v118, -v0
	v_fmac_f32_e32 v119, v3, v118
	v_add_f32_e32 v0, v14, v125
	v_fmamk_f32 v3, v2, 0x3f5db3d7, v1
	v_fmac_f32_e32 v1, 0xbf5db3d7, v2
	v_add_f32_e32 v0, v0, v4
	ds_read_b32 v118, v96
	ds_read_b32 v128, v97
	;; [unrolled: 1-line block ×6, first 2 shown]
	ds_read2_b32 v[26:27], v94 offset1:81
	ds_read2_b32 v[24:25], v94 offset0:162 offset1:243
	s_waitcnt lgkmcnt(0)
	s_barrier
	v_add_f32_e32 v2, v66, v67
	ds_write_b32 v94, v1 offset:720
	v_mov_b32_e32 v1, 0x438
	ds_write2_b32 v94, v0, v3 offset1:90
	v_add_f32_e32 v0, v15, v66
	v_fmac_f32_e32 v15, -0.5, v2
	v_cndmask_b32_e64 v1, 0, v1, s[0:1]
	v_lshlrev_b32_e32 v2, 2, v47
	v_add3_u32 v47, 0, v1, v2
	v_sub_f32_e32 v1, v90, v127
	v_add_f32_e32 v0, v0, v67
	v_fmamk_f32 v2, v1, 0x3f5db3d7, v15
	ds_write2_b32 v47, v0, v2 offset1:90
	v_fmac_f32_e32 v15, 0xbf5db3d7, v1
	v_lshlrev_b32_sdwa v0, v40, v52 dst_sel:DWORD dst_unused:UNUSED_PAD src0_sel:DWORD src1_sel:BYTE_0
	v_mul_u32_u24_e32 v1, 0x438, v51
	v_add3_u32 v51, 0, v1, v0
	v_add_f32_e32 v1, v91, v54
	v_fma_f32 v1, -0.5, v1, v12
	v_sub_f32_e32 v2, v55, v57
	v_fmamk_f32 v3, v2, 0x3f5db3d7, v1
	v_fmac_f32_e32 v1, 0xbf5db3d7, v2
	ds_write_b32 v47, v15 offset:720
	v_add_f32_e32 v0, v12, v91
	ds_write_b32 v51, v1 offset:720
	v_perm_b32 v1, v69, v53, s6
	s_movk_i32 s0, 0x438
	v_add_f32_e32 v0, v0, v54
	v_add_f32_e32 v2, v56, v58
	v_pk_mul_lo_u16 v1, v1, s0 op_sel_hi:[1,0]
	ds_write2_b32 v51, v0, v3 offset1:90
	v_add_f32_e32 v0, v13, v56
	v_fmac_f32_e32 v13, -0.5, v2
	v_lshlrev_b32_e32 v2, 2, v50
	v_and_b32_e32 v3, 0xfff8, v1
	v_add3_u32 v50, 0, v3, v2
	v_sub_f32_e32 v2, v59, v61
	v_add_f32_e32 v0, v0, v58
	v_fmamk_f32 v3, v2, 0x3f5db3d7, v13
	v_fmac_f32_e32 v13, 0xbf5db3d7, v2
	v_add_f32_e32 v2, v60, v62
	ds_write2_b32 v50, v0, v3 offset1:90
	v_add_f32_e32 v0, v46, v60
	v_fmac_f32_e32 v46, -0.5, v2
	v_lshrrev_b32_e32 v1, 16, v1
	v_lshlrev_b32_e32 v2, 2, v75
	v_add3_u32 v52, 0, v1, v2
	v_sub_f32_e32 v1, v63, v65
	v_add_f32_e32 v0, v0, v62
	v_fmamk_f32 v2, v1, 0x3f5db3d7, v46
	v_fmac_f32_e32 v46, 0xbf5db3d7, v1
	v_add_f32_e32 v1, v64, v70
	ds_write_b32 v50, v13 offset:720
	ds_write2_b32 v52, v0, v2 offset1:90
	v_add_f32_e32 v0, v45, v64
	v_fmac_f32_e32 v45, -0.5, v1
	v_mul_u32_u24_e32 v1, 0x438, v100
	v_lshlrev_b32_e32 v2, 2, v101
	ds_write_b32 v52, v46 offset:720
	v_add3_u32 v46, 0, v1, v2
	v_sub_f32_e32 v1, v71, v73
	v_add_f32_e32 v0, v0, v70
	v_fmamk_f32 v2, v1, 0x3f5db3d7, v45
	v_fmac_f32_e32 v45, 0xbf5db3d7, v1
	v_add_f32_e32 v1, v72, v76
	ds_write2_b32 v46, v0, v2 offset1:90
	v_add_f32_e32 v0, v44, v72
	v_fmac_f32_e32 v44, -0.5, v1
	v_mul_u32_u24_e32 v1, 0x438, v104
	v_lshlrev_b32_e32 v2, 2, v105
	ds_write_b32 v46, v45 offset:720
	v_add3_u32 v45, 0, v1, v2
	v_sub_f32_e32 v1, v77, v79
	v_add_f32_e32 v0, v0, v76
	v_fmamk_f32 v2, v1, 0x3f5db3d7, v44
	v_fmac_f32_e32 v44, 0xbf5db3d7, v1
	v_add_f32_e32 v1, v78, v80
	;; [unrolled: 12-line block ×4, first 2 shown]
	ds_write2_b32 v43, v0, v2 offset1:90
	v_add_f32_e32 v0, v41, v88
	v_fmac_f32_e32 v41, -0.5, v1
	ds_write_b32 v43, v42 offset:720
	v_lshl_add_u32 v42, v126, 2, 0
	v_sub_f32_e32 v1, v117, v119
	v_add_f32_e32 v0, v0, v116
	v_fmamk_f32 v2, v1, 0x3f5db3d7, v41
	v_add_u32_e32 v53, 0x2000, v42
	ds_write2_b32 v53, v0, v2 offset0:112 offset1:202
	v_add_f32_e32 v0, v26, v5
	v_add_f32_e32 v69, v0, v7
	;; [unrolled: 1-line block ×3, first 2 shown]
	v_sub_f32_e32 v75, v125, v4
	v_fma_f32 v26, -0.5, v0, v26
	v_fmac_f32_e32 v41, 0xbf5db3d7, v1
	v_fmamk_f32 v100, v75, 0xbf5db3d7, v26
	v_fmac_f32_e32 v26, 0x3f5db3d7, v75
	v_add_f32_e32 v75, v90, v127
	ds_write_b32 v42, v41 offset:9360
	s_waitcnt lgkmcnt(0)
	s_barrier
	ds_read_b32 v40, v96
	ds_read_b32 v41, v97
	;; [unrolled: 1-line block ×6, first 2 shown]
	ds_read2_b32 v[2:3], v94 offset1:81
	ds_read2_b32 v[34:35], v99 offset0:42 offset1:123
	ds_read2_b32 v[32:33], v95 offset0:84 offset1:165
	;; [unrolled: 1-line block ×11, first 2 shown]
	s_waitcnt lgkmcnt(0)
	s_barrier
	ds_write2_b32 v94, v69, v100 offset1:90
	v_add_f32_e32 v69, v27, v90
	v_fmac_f32_e32 v27, -0.5, v75
	v_sub_f32_e32 v66, v66, v67
	ds_write_b32 v94, v26 offset:720
	v_fmamk_f32 v26, v66, 0xbf5db3d7, v27
	v_fmac_f32_e32 v27, 0x3f5db3d7, v66
	v_add_f32_e32 v69, v69, v127
	ds_write_b32 v47, v27 offset:720
	v_add_f32_e32 v27, v55, v57
	ds_write2_b32 v47, v69, v26 offset1:90
	v_add_f32_e32 v26, v24, v55
	v_sub_f32_e32 v47, v91, v54
	v_fma_f32 v24, -0.5, v27, v24
	v_add_f32_e32 v26, v26, v57
	v_fmamk_f32 v27, v47, 0xbf5db3d7, v24
	ds_write2_b32 v51, v26, v27 offset1:90
	v_fmac_f32_e32 v24, 0x3f5db3d7, v47
	v_add_f32_e32 v26, v59, v61
	ds_write_b32 v51, v24 offset:720
	v_add_f32_e32 v24, v25, v59
	v_fmac_f32_e32 v25, -0.5, v26
	v_sub_f32_e32 v26, v56, v58
	v_fmamk_f32 v27, v26, 0xbf5db3d7, v25
	v_fmac_f32_e32 v25, 0x3f5db3d7, v26
	v_add_f32_e32 v24, v24, v61
	ds_write_b32 v50, v25 offset:720
	v_add_f32_e32 v25, v63, v65
	ds_write2_b32 v50, v24, v27 offset1:90
	v_add_f32_e32 v24, v118, v63
	v_fmac_f32_e32 v118, -0.5, v25
	v_sub_f32_e32 v25, v60, v62
	v_add_f32_e32 v24, v24, v65
	v_fmamk_f32 v26, v25, 0xbf5db3d7, v118
	v_fmac_f32_e32 v118, 0x3f5db3d7, v25
	v_add_f32_e32 v25, v71, v73
	ds_write2_b32 v52, v24, v26 offset1:90
	v_add_f32_e32 v24, v128, v71
	v_fmac_f32_e32 v128, -0.5, v25
	v_sub_f32_e32 v25, v64, v70
	v_add_f32_e32 v24, v24, v73
	v_fmamk_f32 v26, v25, 0xbf5db3d7, v128
	v_fmac_f32_e32 v128, 0x3f5db3d7, v25
	v_add_f32_e32 v25, v77, v79
	ds_write_b32 v52, v118 offset:720
	ds_write2_b32 v46, v24, v26 offset1:90
	v_add_f32_e32 v24, v129, v77
	v_fmac_f32_e32 v129, -0.5, v25
	v_sub_f32_e32 v25, v72, v76
	v_add_f32_e32 v24, v24, v79
	v_fmamk_f32 v26, v25, 0xbf5db3d7, v129
	v_fmac_f32_e32 v129, 0x3f5db3d7, v25
	v_add_f32_e32 v25, v81, v83
	ds_write_b32 v46, v128 offset:720
	;; [unrolled: 9-line block ×3, first 2 shown]
	ds_write2_b32 v44, v24, v26 offset1:90
	v_add_f32_e32 v24, v131, v87
	v_fmac_f32_e32 v131, -0.5, v25
	v_sub_f32_e32 v25, v82, v86
	v_add_f32_e32 v24, v24, v89
	v_fmamk_f32 v26, v25, 0xbf5db3d7, v131
	ds_write_b32 v44, v130 offset:720
	ds_write2_b32 v43, v24, v26 offset1:90
	v_fmac_f32_e32 v131, 0x3f5db3d7, v25
	v_add_f32_e32 v24, v132, v117
	v_add_f32_e32 v25, v117, v119
	;; [unrolled: 1-line block ×3, first 2 shown]
	v_fmac_f32_e32 v132, -0.5, v25
	v_sub_f32_e32 v25, v88, v116
	v_fmamk_f32 v26, v25, 0xbf5db3d7, v132
	v_fmac_f32_e32 v132, 0x3f5db3d7, v25
	ds_write_b32 v43, v131 offset:720
	ds_write2_b32 v53, v24, v26 offset0:112 offset1:202
	ds_write_b32 v42, v132 offset:9360
	s_waitcnt lgkmcnt(0)
	s_barrier
	global_load_dwordx4 v[42:45], v[10:11], off offset:2080
	v_lshlrev_b32_e32 v24, 1, v48
	v_mov_b32_e32 v25, v9
	v_lshl_add_u64 v[26:27], v[24:25], 3, s[4:5]
	global_load_dwordx4 v[50:53], v[26:27], off offset:2080
	v_lshlrev_b32_e32 v24, 1, v49
	v_subrev_u32_e32 v54, 27, v122
	v_cmp_gt_u32_e64 s[0:1], 27, v122
	v_lshl_add_u64 v[24:25], v[24:25], 3, s[4:5]
	global_load_dwordx4 v[46:49], v[24:25], off offset:2080
	v_cndmask_b32_e64 v69, v54, v68, s[0:1]
	v_lshlrev_b32_e32 v54, 1, v69
	v_mov_b32_e32 v55, v9
	v_lshl_add_u64 v[54:55], v[54:55], 3, s[4:5]
	global_load_dwordx4 v[54:57], v[54:55], off offset:2080
	v_add_u32_e32 v58, 0x6c, v8
	v_mov_b32_e32 v59, v9
	v_lshl_add_u64 v[58:59], v[58:59], 3, s[4:5]
	v_add_u32_e32 v8, 0x10e, v8
	s_movk_i32 s0, 0x795d
	global_load_dwordx4 v[58:61], v[58:59], off offset:2080
	v_lshl_add_u64 v[62:63], v[8:9], 3, s[4:5]
	global_load_dwordx4 v[62:65], v[62:63], off offset:2080
	v_mul_u32_u24_sdwa v8, v85, s0 dst_sel:DWORD dst_unused:UNUSED_PAD src0_sel:WORD_0 src1_sel:DWORD
	v_mul_u32_u24_sdwa v80, v93, s0 dst_sel:DWORD dst_unused:UNUSED_PAD src0_sel:WORD_0 src1_sel:DWORD
	v_lshrrev_b32_e32 v8, 23, v8
	v_lshrrev_b32_e32 v80, 23, v80
	v_mul_lo_u16_e32 v66, 0x10e, v8
	v_mul_lo_u16_e32 v80, 0x10e, v80
	v_sub_u16_e32 v75, v85, v66
	v_sub_u16_e32 v101, v93, v80
	v_lshlrev_b32_e32 v66, 4, v75
	v_lshlrev_b32_e32 v80, 4, v101
	global_load_dwordx4 v[70:73], v66, s[4:5] offset:2080
	v_mul_u32_u24_sdwa v86, v109, s0 dst_sel:DWORD dst_unused:UNUSED_PAD src0_sel:WORD_0 src1_sel:DWORD
	global_load_dwordx4 v[80:83], v80, s[4:5] offset:2080
	v_mul_u32_u24_sdwa v66, v92, s0 dst_sel:DWORD dst_unused:UNUSED_PAD src0_sel:WORD_0 src1_sel:DWORD
	v_lshrrev_b32_e32 v66, 23, v66
	v_mul_lo_u16_e32 v66, 0x10e, v66
	v_sub_u16_e32 v100, v92, v66
	v_lshlrev_b32_e32 v66, 4, v100
	global_load_dwordx4 v[76:79], v66, s[4:5] offset:2080
	v_lshrrev_b32_e32 v86, 23, v86
	v_mul_lo_u16_e32 v86, 0x10e, v86
	v_sub_u16_e32 v105, v109, v86
	v_lshlrev_b32_e32 v86, 4, v105
	global_load_dwordx4 v[86:89], v86, s[4:5] offset:2080
	ds_read2_b32 v[66:67], v99 offset0:42 offset1:123
	ds_read2_b32 v[90:91], v95 offset0:84 offset1:165
	v_add_u32_e32 v123, 0x800, v94
	v_add_u32_e32 v124, 0x200, v94
	v_add_u32_e32 v125, 0x400, v94
	v_cmp_lt_u32_e64 s[0:1], 26, v122
	v_mul_u32_u24_e32 v8, 0xca8, v8
	s_waitcnt vmcnt(9) lgkmcnt(1)
	v_mul_f32_e32 v104, v66, v43
	v_fma_f32 v104, v34, v42, -v104
	v_mul_f32_e32 v116, v34, v43
	s_waitcnt lgkmcnt(0)
	v_mul_f32_e32 v34, v90, v45
	v_fmac_f32_e32 v116, v66, v42
	v_fma_f32 v42, v32, v44, -v34
	v_mul_f32_e32 v45, v32, v45
	s_waitcnt vmcnt(8)
	v_mul_f32_e32 v32, v67, v51
	v_fmac_f32_e32 v45, v90, v44
	v_fma_f32 v44, v35, v50, -v32
	v_mul_f32_e32 v66, v35, v51
	v_mul_f32_e32 v32, v91, v53
	ds_read2_b32 v[34:35], v103 offset0:76 offset1:157
	v_fmac_f32_e32 v66, v67, v50
	v_fma_f32 v67, v33, v52, -v32
	v_mul_f32_e32 v90, v33, v53
	ds_read2_b32 v[32:33], v106 offset0:118 offset1:199
	s_waitcnt vmcnt(7) lgkmcnt(1)
	v_mul_f32_e32 v43, v34, v47
	v_fmac_f32_e32 v90, v91, v52
	v_fma_f32 v91, v30, v46, -v43
	v_mul_f32_e32 v117, v30, v47
	s_waitcnt lgkmcnt(0)
	v_mul_f32_e32 v30, v32, v49
	v_fma_f32 v118, v28, v48, -v30
	v_mul_f32_e32 v49, v28, v49
	s_waitcnt vmcnt(6)
	v_mul_f32_e32 v28, v35, v55
	v_fmac_f32_e32 v49, v32, v48
	v_fma_f32 v48, v31, v54, -v28
	v_mul_f32_e32 v55, v31, v55
	v_mul_f32_e32 v28, v33, v57
	ds_read2_b32 v[30:31], v110 offset0:110 offset1:191
	v_fmac_f32_e32 v55, v35, v54
	v_fma_f32 v54, v29, v56, -v28
	v_mul_f32_e32 v57, v29, v57
	ds_read2_b32 v[28:29], v111 offset0:152 offset1:233
	s_waitcnt vmcnt(5) lgkmcnt(1)
	v_mul_f32_e32 v32, v30, v59
	v_fmac_f32_e32 v57, v33, v56
	v_fma_f32 v56, v18, v58, -v32
	v_mul_f32_e32 v59, v18, v59
	s_waitcnt lgkmcnt(0)
	v_mul_f32_e32 v18, v28, v61
	v_fmac_f32_e32 v59, v30, v58
	v_fma_f32 v58, v16, v60, -v18
	v_mul_f32_e32 v119, v16, v61
	s_waitcnt vmcnt(4)
	v_mul_f32_e32 v16, v31, v63
	v_fma_f32 v120, v19, v62, -v16
	v_mul_f32_e32 v63, v19, v63
	v_mul_f32_e32 v16, v29, v65
	ds_read2_b32 v[18:19], v112 offset0:16 offset1:97
	v_fmac_f32_e32 v63, v31, v62
	v_fma_f32 v31, v17, v64, -v16
	v_mul_f32_e32 v62, v17, v65
	ds_read2_b32 v[16:17], v113 offset0:58 offset1:139
	v_fmac_f32_e32 v119, v28, v60
	s_waitcnt vmcnt(3) lgkmcnt(1)
	v_mul_f32_e32 v28, v18, v71
	v_fmac_f32_e32 v62, v29, v64
	v_fma_f32 v64, v14, v70, -v28
	v_mul_f32_e32 v65, v14, v71
	s_waitcnt lgkmcnt(0)
	v_mul_f32_e32 v14, v16, v73
	v_fmac_f32_e32 v65, v18, v70
	v_fma_f32 v70, v12, v72, -v14
	v_mul_f32_e32 v71, v12, v73
	s_waitcnt vmcnt(1)
	v_mul_f32_e32 v12, v19, v77
	v_fmac_f32_e32 v71, v16, v72
	v_fma_f32 v72, v15, v76, -v12
	v_mul_f32_e32 v73, v15, v77
	v_mul_f32_e32 v12, v17, v79
	ds_read2_b32 v[14:15], v114 offset0:50 offset1:131
	v_fmac_f32_e32 v73, v19, v76
	v_fma_f32 v19, v13, v78, -v12
	v_mul_f32_e32 v76, v13, v79
	ds_read2_b32 v[12:13], v115 offset0:92 offset1:173
	s_waitcnt lgkmcnt(1)
	v_mul_f32_e32 v16, v14, v81
	v_fmac_f32_e32 v76, v17, v78
	v_fma_f32 v77, v6, v80, -v16
	v_mul_f32_e32 v78, v6, v81
	s_waitcnt lgkmcnt(0)
	v_mul_f32_e32 v6, v12, v83
	v_fmac_f32_e32 v78, v14, v80
	v_fma_f32 v79, v4, v82, -v6
	v_mul_f32_e32 v80, v4, v83
	s_waitcnt vmcnt(0)
	v_mul_f32_e32 v4, v15, v87
	v_fma_f32 v81, v7, v86, -v4
	v_mul_f32_e32 v7, v7, v87
	v_mul_f32_e32 v4, v13, v89
	v_fmac_f32_e32 v7, v15, v86
	v_fma_f32 v15, v5, v88, -v4
	v_add_f32_e32 v4, v104, v42
	v_fmac_f32_e32 v80, v12, v82
	v_mul_f32_e32 v82, v5, v89
	v_fma_f32 v4, -0.5, v4, v2
	v_sub_f32_e32 v5, v116, v45
	v_add_f32_e32 v12, v44, v67
	v_fmamk_f32 v6, v5, 0x3f5db3d7, v4
	v_fmac_f32_e32 v4, 0xbf5db3d7, v5
	v_add_f32_e32 v5, v3, v44
	v_fmac_f32_e32 v3, -0.5, v12
	v_sub_f32_e32 v12, v66, v90
	v_fmac_f32_e32 v82, v13, v88
	v_fmamk_f32 v13, v12, 0x3f5db3d7, v3
	v_fmac_f32_e32 v3, 0xbf5db3d7, v12
	v_add_f32_e32 v2, v2, v104
	v_fmac_f32_e32 v117, v34, v46
	ds_read_b32 v83, v96
	ds_read_b32 v86, v97
	;; [unrolled: 1-line block ×6, first 2 shown]
	ds_read2_b32 v[34:35], v94 offset1:81
	ds_read2_b32 v[32:33], v94 offset0:162 offset1:243
	s_waitcnt lgkmcnt(0)
	s_barrier
	ds_write2_b32 v123, v4, v3 offset0:28 offset1:109
	v_add_f32_e32 v2, v2, v42
	v_add_f32_e32 v3, v5, v67
	ds_write2_b32 v94, v2, v3 offset1:81
	v_add_f32_e32 v2, v0, v91
	v_add_f32_e32 v2, v2, v118
	ds_write2_b32 v124, v2, v6 offset0:34 offset1:142
	v_add_f32_e32 v2, v91, v118
	v_fma_f32 v0, -0.5, v2, v0
	v_sub_f32_e32 v2, v117, v49
	v_fmamk_f32 v3, v2, 0x3f5db3d7, v0
	ds_write2_b32 v125, v13, v3 offset0:95 offset1:176
	v_fmac_f32_e32 v0, 0xbf5db3d7, v2
	v_add_f32_e32 v3, v48, v54
	v_add_f32_e32 v2, v1, v48
	v_fmac_f32_e32 v1, -0.5, v3
	v_sub_f32_e32 v3, v55, v57
	ds_write_b32 v94, v0 offset:2808
	v_mov_b32_e32 v0, 0xca8
	v_fmamk_f32 v4, v3, 0x3f5db3d7, v1
	v_fmac_f32_e32 v1, 0xbf5db3d7, v3
	v_cndmask_b32_e64 v0, 0, v0, s[0:1]
	v_lshlrev_b32_e32 v3, 2, v69
	v_add3_u32 v69, 0, v0, v3
	v_add_f32_e32 v0, v2, v54
	ds_write_b32 v69, v1 offset:2160
	ds_write_b32 v69, v0
	ds_write_b32 v69, v4 offset:1080
	v_add_f32_e32 v0, v40, v56
	v_add_f32_e32 v1, v41, v120
	v_lshl_add_u32 v2, v122, 2, 0
	v_add_f32_e32 v0, v0, v58
	v_add_f32_e32 v1, v1, v31
	v_add_u32_e32 v126, 0xc00, v2
	ds_write2_b32 v126, v0, v1 offset0:96 offset1:177
	v_add_f32_e32 v0, v56, v58
	v_fmac_f32_e32 v40, -0.5, v0
	v_add_f32_e32 v0, v120, v31
	v_fmac_f32_e32 v41, -0.5, v0
	v_sub_f32_e32 v0, v59, v119
	v_sub_f32_e32 v3, v63, v62
	v_fmamk_f32 v1, v0, 0x3f5db3d7, v40
	v_fmamk_f32 v4, v3, 0x3f5db3d7, v41
	v_add_u32_e32 v127, 0x1000, v2
	ds_write2_b32 v127, v1, v4 offset0:110 offset1:191
	v_add_u32_e32 v1, 0x1400, v2
	v_add_f32_e32 v2, v64, v70
	v_fmac_f32_e32 v40, 0xbf5db3d7, v0
	v_add_f32_e32 v0, v39, v64
	v_fmac_f32_e32 v39, -0.5, v2
	v_sub_f32_e32 v2, v65, v71
	v_add_f32_e32 v4, v72, v19
	v_fmac_f32_e32 v41, 0xbf5db3d7, v3
	v_fmamk_f32 v3, v2, 0x3f5db3d7, v39
	v_fmac_f32_e32 v39, 0xbf5db3d7, v2
	v_add_f32_e32 v2, v38, v72
	v_fmac_f32_e32 v38, -0.5, v4
	v_sub_f32_e32 v4, v73, v76
	v_add_f32_e32 v6, v77, v79
	v_fmamk_f32 v5, v4, 0x3f5db3d7, v38
	v_fmac_f32_e32 v38, 0xbf5db3d7, v4
	v_add_f32_e32 v4, v37, v77
	v_fmac_f32_e32 v37, -0.5, v6
	v_sub_f32_e32 v6, v78, v80
	v_add_f32_e32 v13, v81, v15
	v_fmamk_f32 v12, v6, 0x3f5db3d7, v37
	v_fmac_f32_e32 v37, 0xbf5db3d7, v6
	v_add_f32_e32 v6, v36, v81
	v_fmac_f32_e32 v36, -0.5, v13
	v_sub_f32_e32 v13, v7, v82
	v_fmamk_f32 v14, v13, 0x3f5db3d7, v36
	v_fmac_f32_e32 v36, 0xbf5db3d7, v13
	v_lshlrev_b32_e32 v13, 2, v75
	v_add3_u32 v8, 0, v8, v13
	v_add_f32_e32 v0, v0, v70
	ds_write2_b32 v1, v40, v41 offset0:124 offset1:205
	ds_write_b32 v8, v0
	ds_write_b32 v8, v3 offset:1080
	ds_write_b32 v8, v39 offset:2160
	v_add_f32_e32 v0, v2, v19
	v_lshl_add_u32 v39, v100, 2, 0
	ds_write_b32 v39, v0 offset:6480
	ds_write_b32 v39, v5 offset:7560
	ds_write_b32 v39, v38 offset:8640
	v_add_f32_e32 v0, v4, v79
	v_lshl_add_u32 v75, v101, 2, 0
	ds_write_b32 v75, v0 offset:6480
	;; [unrolled: 5-line block ×3, first 2 shown]
	ds_write_b32 v100, v14 offset:7560
	ds_write_b32 v100, v36 offset:8640
	v_add_f32_e32 v0, v116, v45
	v_sub_f32_e32 v104, v104, v42
	v_fma_f32 v101, -0.5, v0, v34
	v_add_f32_e32 v0, v32, v117
	v_add_f32_e32 v105, v0, v49
	v_fmamk_f32 v128, v104, 0xbf5db3d7, v101
	s_waitcnt lgkmcnt(0)
	s_barrier
	ds_read2_b32 v[50:51], v94 offset1:81
	ds_read2_b32 v[40:41], v94 offset0:162 offset1:243
	ds_read2_b32 v[60:61], v99 offset0:42 offset1:123
	;; [unrolled: 1-line block ×11, first 2 shown]
	ds_read_b32 v38, v96
	ds_read_b32 v30, v97
	;; [unrolled: 1-line block ×6, first 2 shown]
	s_waitcnt lgkmcnt(0)
	s_barrier
	ds_write2_b32 v124, v105, v128 offset0:34 offset1:142
	v_add_f32_e32 v105, v35, v66
	v_add_f32_e32 v66, v66, v90
	v_fmac_f32_e32 v35, -0.5, v66
	v_sub_f32_e32 v44, v44, v67
	v_add_f32_e32 v49, v117, v49
	v_fma_f32 v32, -0.5, v49, v32
	v_fmamk_f32 v49, v44, 0xbf5db3d7, v35
	v_fmac_f32_e32 v101, 0x3f5db3d7, v104
	v_fmac_f32_e32 v35, 0x3f5db3d7, v44
	v_add_f32_e32 v34, v34, v116
	ds_write2_b32 v123, v101, v35 offset0:28 offset1:109
	v_add_f32_e32 v34, v34, v45
	v_add_f32_e32 v35, v105, v90
	v_sub_f32_e32 v66, v91, v118
	ds_write2_b32 v94, v34, v35 offset1:81
	v_add_f32_e32 v35, v55, v57
	v_fmamk_f32 v67, v66, 0xbf5db3d7, v32
	v_fmac_f32_e32 v32, 0x3f5db3d7, v66
	v_add_f32_e32 v34, v33, v55
	v_fmac_f32_e32 v33, -0.5, v35
	v_sub_f32_e32 v35, v48, v54
	ds_write2_b32 v125, v49, v67 offset0:95 offset1:176
	v_fmamk_f32 v44, v35, 0xbf5db3d7, v33
	v_fmac_f32_e32 v33, 0x3f5db3d7, v35
	ds_write_b32 v94, v32 offset:2808
	ds_write_b32 v69, v33 offset:2160
	v_add_f32_e32 v32, v34, v57
	ds_write_b32 v69, v32
	ds_write_b32 v69, v44 offset:1080
	v_add_f32_e32 v32, v83, v59
	v_add_f32_e32 v33, v86, v63
	;; [unrolled: 1-line block ×4, first 2 shown]
	ds_write2_b32 v126, v32, v33 offset0:96 offset1:177
	v_add_f32_e32 v32, v59, v119
	v_add_f32_e32 v33, v63, v62
	v_fmac_f32_e32 v83, -0.5, v32
	v_sub_f32_e32 v32, v56, v58
	v_fmac_f32_e32 v86, -0.5, v33
	v_sub_f32_e32 v31, v120, v31
	v_fmamk_f32 v33, v32, 0xbf5db3d7, v83
	v_fmamk_f32 v34, v31, 0xbf5db3d7, v86
	v_fmac_f32_e32 v83, 0x3f5db3d7, v32
	v_fmac_f32_e32 v86, 0x3f5db3d7, v31
	ds_write2_b32 v1, v83, v86 offset0:124 offset1:205
	v_add_f32_e32 v1, v87, v65
	v_add_f32_e32 v31, v65, v71
	;; [unrolled: 1-line block ×3, first 2 shown]
	v_fmac_f32_e32 v87, -0.5, v31
	v_sub_f32_e32 v31, v64, v70
	ds_write2_b32 v127, v33, v34 offset0:110 offset1:191
	v_fmamk_f32 v32, v31, 0xbf5db3d7, v87
	v_fmac_f32_e32 v87, 0x3f5db3d7, v31
	ds_write_b32 v8, v1
	ds_write_b32 v8, v32 offset:1080
	ds_write_b32 v8, v87 offset:2160
	v_add_f32_e32 v1, v88, v73
	v_add_f32_e32 v8, v73, v76
	;; [unrolled: 1-line block ×3, first 2 shown]
	v_fmac_f32_e32 v88, -0.5, v8
	v_sub_f32_e32 v8, v72, v19
	v_fmamk_f32 v19, v8, 0xbf5db3d7, v88
	v_fmac_f32_e32 v88, 0x3f5db3d7, v8
	ds_write_b32 v39, v1 offset:6480
	ds_write_b32 v39, v19 offset:7560
	;; [unrolled: 1-line block ×3, first 2 shown]
	v_add_f32_e32 v1, v89, v78
	v_add_f32_e32 v8, v78, v80
	;; [unrolled: 1-line block ×3, first 2 shown]
	v_fmac_f32_e32 v89, -0.5, v8
	v_sub_f32_e32 v8, v77, v79
	v_fmamk_f32 v19, v8, 0xbf5db3d7, v89
	v_fmac_f32_e32 v89, 0x3f5db3d7, v8
	ds_write_b32 v75, v1 offset:6480
	ds_write_b32 v75, v19 offset:7560
	;; [unrolled: 1-line block ×3, first 2 shown]
	v_add_f32_e32 v1, v121, v7
	v_add_f32_e32 v7, v7, v82
	v_fmac_f32_e32 v121, -0.5, v7
	v_sub_f32_e32 v7, v81, v15
	v_add_f32_e32 v1, v1, v82
	v_fmamk_f32 v8, v7, 0xbf5db3d7, v121
	s_movk_i32 s1, 0x1000
	s_mov_b32 s0, 0x3f5db3d7
	v_fmac_f32_e32 v121, 0x3f5db3d7, v7
	ds_write_b32 v100, v1 offset:6480
	ds_write_b32 v100, v8 offset:7560
	;; [unrolled: 1-line block ×3, first 2 shown]
	s_waitcnt lgkmcnt(0)
	s_barrier
	s_and_saveexec_b64 s[6:7], vcc
	s_cbranch_execz .LBB0_15
; %bb.14:
	v_add_co_u32_e32 v10, vcc, s1, v10
	v_mul_lo_u32 v62, s3, v22
	s_nop 0
	v_addc_co_u32_e32 v11, vcc, 0, v11, vcc
	global_load_dwordx4 v[70:73], v[10:11], off offset:2304
	v_add_co_u32_e32 v26, vcc, s1, v26
	v_mul_lo_u32 v63, s2, v23
	s_nop 0
	v_addc_co_u32_e32 v27, vcc, 0, v27, vcc
	v_mad_u64_u32 v[54:55], s[2:3], s2, v22, 0
	ds_read2_b32 v[22:23], v114 offset0:50 offset1:131
	ds_read2_b32 v[10:11], v115 offset0:92 offset1:173
	;; [unrolled: 1-line block ×6, first 2 shown]
	ds_read_b32 v1, v108
	ds_read_b32 v7, v107
	;; [unrolled: 1-line block ×6, first 2 shown]
	ds_read2_b32 v[64:65], v103 offset0:76 offset1:157
	ds_read2_b32 v[58:59], v106 offset0:118 offset1:199
	ds_read2_b32 v[56:57], v94 offset0:162 offset1:243
	ds_read2_b32 v[86:87], v99 offset0:42 offset1:123
	global_load_dwordx4 v[76:79], v[26:27], off offset:2304
	v_add_co_u32_e32 v26, vcc, s1, v24
	ds_read2_b32 v[88:89], v95 offset0:84 offset1:165
	ds_read2_b32 v[90:91], v94 offset1:81
	v_addc_co_u32_e32 v27, vcc, 0, v25, vcc
	global_load_dwordx4 v[80:83], v[26:27], off offset:2304
	v_lshlrev_b32_e32 v8, 1, v109
	v_lshl_add_u64 v[24:25], v[8:9], 3, s[4:5]
	v_lshlrev_b32_e32 v8, 1, v93
	s_mov_b32 s2, 0x50e89cc3
	v_add3_u32 v55, v55, v63, v62
	v_lshl_add_u64 v[26:27], v[8:9], 3, s[4:5]
	v_lshlrev_b32_e32 v8, 1, v92
	v_mov_b32_e32 v94, v50
	v_mul_hi_u32 v50, v122, s2
	v_lshl_add_u64 v[62:63], v[54:55], 3, s[10:11]
	v_lshl_add_u64 v[54:55], v[8:9], 3, s[4:5]
	v_lshlrev_b32_e32 v8, 1, v85
	v_lshrrev_b32_e32 v50, 8, v50
	v_lshl_add_u64 v[20:21], v[20:21], 3, v[62:63]
	v_lshl_add_u64 v[62:63], v[8:9], 3, s[4:5]
	v_lshlrev_b32_e32 v8, 1, v84
	v_mul_u32_u24_e32 v50, 0x32a, v50
	v_lshl_add_u64 v[66:67], v[8:9], 3, s[4:5]
	v_lshlrev_b32_e32 v8, 1, v74
	v_sub_u32_e32 v50, v122, v50
	v_lshl_add_u64 v[74:75], v[8:9], 3, s[4:5]
	v_lshlrev_b32_e32 v8, 1, v68
	v_lshl_add_u64 v[68:69], v[8:9], 3, s[4:5]
	v_lshlrev_b32_e32 v8, 3, v50
	s_waitcnt lgkmcnt(0)
	v_mov_b32_e32 v95, v90
	v_lshl_add_u64 v[84:85], v[20:21], 0, v[8:9]
	v_add_u32_e32 v8, 0x51, v122
	v_mul_hi_u32 v50, v8, s2
	v_add_co_u32_e32 v92, vcc, s1, v84
	v_lshrrev_b32_e32 v50, 8, v50
	s_movk_i32 s3, 0x3000
	v_addc_co_u32_e32 v93, vcc, 0, v85, vcc
	v_mov_b32_e32 v90, v51
	s_waitcnt vmcnt(2)
	v_pk_mul_f32 v[96:97], v[70:71], v[86:87] op_sel_hi:[1,0]
	v_pk_mul_f32 v[98:99], v[72:73], v[88:89] op_sel_hi:[1,0]
	v_pk_fma_f32 v[100:101], v[60:61], v[70:71], v[96:97] op_sel:[0,0,1] op_sel_hi:[1,1,0] neg_lo:[0,0,1] neg_hi:[0,0,1]
	v_pk_fma_f32 v[70:71], v[60:61], v[70:71], v[96:97] op_sel:[0,0,1] op_sel_hi:[0,1,0]
	v_pk_fma_f32 v[96:97], v[52:53], v[72:73], v[98:99] op_sel:[0,0,1] op_sel_hi:[1,1,0] neg_lo:[0,0,1] neg_hi:[0,0,1]
	v_pk_fma_f32 v[72:73], v[52:53], v[72:73], v[98:99] op_sel:[0,0,1] op_sel_hi:[0,1,0]
	v_mov_b32_e32 v101, v71
	v_mov_b32_e32 v97, v73
	v_pk_add_f32 v[70:71], v[94:95], v[100:101]
	v_pk_add_f32 v[72:73], v[100:101], v[96:97]
	v_pk_add_f32 v[98:99], v[100:101], v[96:97] neg_lo:[0,1] neg_hi:[0,1]
	v_pk_add_f32 v[70:71], v[70:71], v[96:97]
	v_pk_fma_f32 v[72:73], v[72:73], 0.5, v[94:95] op_sel_hi:[1,0,1] neg_lo:[1,0,0] neg_hi:[1,0,0]
	v_pk_mul_f32 v[94:95], v[98:99], s[0:1] op_sel_hi:[1,0]
	global_store_dwordx2 v[84:85], v[70:71], off
	v_pk_add_f32 v[70:71], v[72:73], v[94:95] op_sel:[0,1] op_sel_hi:[1,0]
	v_mul_u32_u24_e32 v52, 0x32a, v50
	v_pk_add_f32 v[72:73], v[72:73], v[94:95] op_sel:[0,1] op_sel_hi:[1,0] neg_lo:[0,1] neg_hi:[0,1]
	v_mov_b32_e32 v94, v70
	v_add_co_u32_e32 v70, vcc, s3, v84
	v_sub_u32_e32 v8, v8, v52
	s_movk_i32 s3, 0x97e
	v_mov_b32_e32 v95, v73
	v_mov_b32_e32 v73, v71
	v_addc_co_u32_e32 v71, vcc, 0, v85, vcc
	v_mad_u32_u24 v8, v50, s3, v8
	global_store_dwordx2 v[70:71], v[72:73], off offset:672
	v_lshl_add_u64 v[72:73], v[8:9], 3, v[20:21]
	v_add_u32_e32 v70, 0x32a, v8
	v_add_u32_e32 v8, 0x654, v8
	v_mov_b32_e32 v52, v87
	global_store_dwordx2 v[92:93], v[94:95], off offset:2384
	v_lshl_add_u64 v[92:93], v[8:9], 3, v[20:21]
	v_mov_b32_e32 v8, v61
	v_mov_b32_e32 v50, v61
	s_waitcnt vmcnt(4)
	v_pk_mul_f32 v[60:61], v[76:77], v[52:53] op_sel_hi:[1,0]
	v_mov_b32_e32 v52, v89
	v_pk_fma_f32 v[86:87], v[8:9], v[76:77], v[60:61] op_sel:[0,0,1] op_sel_hi:[1,1,0] neg_lo:[0,0,1] neg_hi:[0,0,1]
	v_pk_fma_f32 v[60:61], v[50:51], v[76:77], v[60:61] op_sel:[0,0,1] op_sel_hi:[0,1,0]
	v_add_co_u32_e32 v68, vcc, s1, v68
	v_mov_b32_e32 v8, v53
	v_mov_b32_e32 v50, v53
	v_pk_mul_f32 v[52:53], v[78:79], v[52:53] op_sel_hi:[1,0]
	v_mov_b32_e32 v71, v9
	v_addc_co_u32_e32 v69, vcc, 0, v69, vcc
	v_mov_b32_e32 v87, v61
	v_pk_fma_f32 v[60:61], v[8:9], v[78:79], v[52:53] op_sel:[0,0,1] op_sel_hi:[1,1,0] neg_lo:[0,0,1] neg_hi:[0,0,1]
	v_pk_fma_f32 v[52:53], v[50:51], v[78:79], v[52:53] op_sel:[0,0,1] op_sel_hi:[0,1,0]
	v_lshl_add_u64 v[84:85], v[70:71], 3, v[20:21]
	global_load_dwordx4 v[68:71], v[68:69], off offset:2304
	v_mov_b32_e32 v61, v53
	v_pk_add_f32 v[52:53], v[86:87], v[60:61]
	v_add_u32_e32 v8, 0xa2, v122
	v_pk_fma_f32 v[50:51], v[52:53], 0.5, v[90:91] op_sel_hi:[1,0,1] neg_lo:[1,0,0] neg_hi:[1,0,0]
	v_pk_add_f32 v[52:53], v[86:87], v[60:61] neg_lo:[0,1] neg_hi:[0,1]
	s_nop 0
	v_pk_mul_f32 v[52:53], v[52:53], s[0:1] op_sel_hi:[1,0]
	s_nop 0
	v_pk_add_f32 v[76:77], v[50:51], v[52:53] op_sel:[0,1] op_sel_hi:[1,0] neg_lo:[0,1] neg_hi:[0,1]
	v_pk_add_f32 v[50:51], v[50:51], v[52:53] op_sel:[0,1] op_sel_hi:[1,0]
	v_pk_add_f32 v[52:53], v[90:91], v[86:87]
	s_nop 0
	v_pk_add_f32 v[52:53], v[52:53], v[60:61]
	global_store_dwordx2 v[72:73], v[52:53], off
	v_mov_b32_e32 v52, v50
	v_mul_hi_u32 v50, v8, s2
	v_lshrrev_b32_e32 v50, 8, v50
	v_mov_b32_e32 v53, v77
	v_mov_b32_e32 v77, v51
	v_mul_u32_u24_e32 v51, 0x32a, v50
	v_sub_u32_e32 v8, v8, v51
	v_mad_u32_u24 v8, v50, s3, v8
	v_add_u32_e32 v50, 0x32a, v8
	v_mov_b32_e32 v51, v9
	v_lshl_add_u64 v[72:73], v[50:51], 3, v[20:21]
	s_waitcnt vmcnt(5)
	v_pk_mul_f32 v[50:51], v[80:81], v[64:65] op_sel_hi:[1,0]
	global_store_dwordx2 v[84:85], v[52:53], off
	v_pk_fma_f32 v[78:79], v[46:47], v[80:81], v[50:51] op_sel:[0,0,1] op_sel_hi:[1,1,0] neg_lo:[0,0,1] neg_hi:[0,0,1]
	v_pk_fma_f32 v[80:81], v[46:47], v[80:81], v[50:51] op_sel:[0,0,1] op_sel_hi:[0,1,0]
	v_add_co_u32_e32 v50, vcc, s1, v74
	v_lshl_add_u64 v[60:61], v[8:9], 3, v[20:21]
	s_nop 0
	v_addc_co_u32_e32 v51, vcc, 0, v75, vcc
	global_load_dwordx4 v[50:53], v[50:51], off offset:2304
	v_add_u32_e32 v8, 0x654, v8
	v_pk_mul_f32 v[74:75], v[82:83], v[58:59] op_sel_hi:[1,0]
	global_store_dwordx2 v[92:93], v[76:77], off
	v_lshl_add_u64 v[76:77], v[8:9], 3, v[20:21]
	v_mov_b32_e32 v79, v81
	v_pk_fma_f32 v[80:81], v[42:43], v[82:83], v[74:75] op_sel:[0,0,1] op_sel_hi:[1,1,0] neg_lo:[0,0,1] neg_hi:[0,0,1]
	v_pk_fma_f32 v[74:75], v[42:43], v[82:83], v[74:75] op_sel:[0,0,1] op_sel_hi:[0,1,0]
	v_add_u32_e32 v8, 0xf3, v122
	v_mov_b32_e32 v81, v75
	v_mov_b32_e32 v82, v40
	v_mul_hi_u32 v40, v8, s2
	v_pk_add_f32 v[74:75], v[78:79], v[80:81]
	v_mov_b32_e32 v83, v56
	v_pk_add_f32 v[84:85], v[78:79], v[80:81] neg_lo:[0,1] neg_hi:[0,1]
	v_lshrrev_b32_e32 v40, 8, v40
	v_pk_fma_f32 v[74:75], v[74:75], 0.5, v[82:83] op_sel_hi:[1,0,1] neg_lo:[1,0,0] neg_hi:[1,0,0]
	v_pk_mul_f32 v[84:85], v[84:85], s[0:1] op_sel_hi:[1,0]
	v_pk_add_f32 v[78:79], v[82:83], v[78:79]
	v_mul_u32_u24_e32 v42, 0x32a, v40
	v_pk_add_f32 v[86:87], v[74:75], v[84:85] op_sel:[0,1] op_sel_hi:[1,0] neg_lo:[0,1] neg_hi:[0,1]
	v_pk_add_f32 v[74:75], v[74:75], v[84:85] op_sel:[0,1] op_sel_hi:[1,0]
	v_pk_add_f32 v[78:79], v[78:79], v[80:81]
	v_sub_u32_e32 v8, v8, v42
	global_store_dwordx2 v[60:61], v[78:79], off
	v_mov_b32_e32 v60, v74
	v_mov_b32_e32 v61, v87
	v_mad_u32_u24 v8, v40, s3, v8
	global_store_dwordx2 v[72:73], v[60:61], off
	v_lshl_add_u64 v[60:61], v[8:9], 3, v[20:21]
	v_add_u32_e32 v72, 0x32a, v8
	v_add_u32_e32 v8, 0x654, v8
	v_mov_b32_e32 v42, v65
	v_mov_b32_e32 v87, v75
	v_lshl_add_u64 v[74:75], v[8:9], 3, v[20:21]
	v_mov_b32_e32 v8, v47
	v_mov_b32_e32 v40, v47
	v_add_co_u32_e32 v64, vcc, s1, v66
	global_store_dwordx2 v[76:77], v[86:87], off
	s_nop 0
	v_addc_co_u32_e32 v65, vcc, 0, v67, vcc
	global_load_dwordx4 v[64:67], v[64:65], off offset:2304
	v_mov_b32_e32 v56, v41
	v_mov_b32_e32 v73, v9
	s_waitcnt vmcnt(8)
	v_pk_mul_f32 v[46:47], v[68:69], v[42:43] op_sel_hi:[1,0]
	v_mov_b32_e32 v42, v59
	v_pk_fma_f32 v[76:77], v[8:9], v[68:69], v[46:47] op_sel:[0,0,1] op_sel_hi:[1,1,0] neg_lo:[0,0,1] neg_hi:[0,0,1]
	v_pk_fma_f32 v[46:47], v[40:41], v[68:69], v[46:47] op_sel:[0,0,1] op_sel_hi:[0,1,0]
	v_mov_b32_e32 v8, v43
	v_mov_b32_e32 v40, v43
	v_pk_mul_f32 v[42:43], v[70:71], v[42:43] op_sel_hi:[1,0]
	v_mov_b32_e32 v77, v47
	v_pk_fma_f32 v[46:47], v[8:9], v[70:71], v[42:43] op_sel:[0,0,1] op_sel_hi:[1,1,0] neg_lo:[0,0,1] neg_hi:[0,0,1]
	v_pk_fma_f32 v[42:43], v[40:41], v[70:71], v[42:43] op_sel:[0,0,1] op_sel_hi:[0,1,0]
	v_mov_b32_e32 v47, v43
	v_pk_add_f32 v[42:43], v[76:77], v[46:47]
	v_add_u32_e32 v8, 0x144, v122
	v_pk_fma_f32 v[40:41], v[42:43], 0.5, v[56:57] op_sel_hi:[1,0,1] neg_lo:[1,0,0] neg_hi:[1,0,0]
	v_pk_add_f32 v[42:43], v[76:77], v[46:47] neg_lo:[0,1] neg_hi:[0,1]
	v_lshl_add_u64 v[72:73], v[72:73], 3, v[20:21]
	v_pk_mul_f32 v[42:43], v[42:43], s[0:1] op_sel_hi:[1,0]
	s_nop 0
	v_pk_add_f32 v[58:59], v[40:41], v[42:43] op_sel:[0,1] op_sel_hi:[1,0] neg_lo:[0,1] neg_hi:[0,1]
	v_pk_add_f32 v[40:41], v[40:41], v[42:43] op_sel:[0,1] op_sel_hi:[1,0]
	v_pk_add_f32 v[42:43], v[56:57], v[76:77]
	s_nop 0
	v_pk_add_f32 v[42:43], v[42:43], v[46:47]
	global_store_dwordx2 v[60:61], v[42:43], off
	v_mov_b32_e32 v42, v40
	v_mul_hi_u32 v40, v8, s2
	v_lshrrev_b32_e32 v40, 8, v40
	v_mov_b32_e32 v43, v59
	v_mov_b32_e32 v59, v41
	v_mul_u32_u24_e32 v41, 0x32a, v40
	v_sub_u32_e32 v8, v8, v41
	v_mad_u32_u24 v8, v40, s3, v8
	v_add_u32_e32 v40, 0x32a, v8
	v_mov_b32_e32 v41, v9
	v_lshl_add_u64 v[56:57], v[40:41], 3, v[20:21]
	s_waitcnt vmcnt(6)
	v_pk_mul_f32 v[40:41], v[50:51], v[48:49] op_sel_hi:[1,0]
	global_store_dwordx2 v[72:73], v[42:43], off
	v_pk_fma_f32 v[60:61], v[36:37], v[50:51], v[40:41] op_sel:[0,0,1] op_sel_hi:[1,1,0] neg_lo:[0,0,1] neg_hi:[0,0,1]
	v_pk_fma_f32 v[40:41], v[36:37], v[50:51], v[40:41] op_sel:[0,0,1] op_sel_hi:[0,1,0]
	v_add_co_u32_e32 v40, vcc, s1, v62
	v_mov_b32_e32 v61, v41
	s_nop 0
	v_addc_co_u32_e32 v41, vcc, 0, v63, vcc
	global_load_dwordx4 v[40:43], v[40:41], off offset:2304
	v_lshl_add_u64 v[46:47], v[8:9], 3, v[20:21]
	v_add_u32_e32 v8, 0x654, v8
	v_pk_mul_f32 v[50:51], v[52:53], v[44:45] op_sel_hi:[1,0]
	global_store_dwordx2 v[74:75], v[58:59], off
	v_lshl_add_u64 v[58:59], v[8:9], 3, v[20:21]
	v_pk_fma_f32 v[62:63], v[28:29], v[52:53], v[50:51] op_sel:[0,0,1] op_sel_hi:[1,1,0] neg_lo:[0,0,1] neg_hi:[0,0,1]
	v_pk_fma_f32 v[50:51], v[28:29], v[52:53], v[50:51] op_sel:[0,0,1] op_sel_hi:[0,1,0]
	v_add_u32_e32 v8, 0x195, v122
	v_mov_b32_e32 v63, v51
	v_mul_hi_u32 v28, v8, s2
	v_pk_add_f32 v[50:51], v[60:61], v[62:63]
	v_pk_add_f32 v[52:53], v[60:61], v[62:63] neg_lo:[0,1] neg_hi:[0,1]
	v_lshrrev_b32_e32 v28, 8, v28
	v_pk_fma_f32 v[50:51], v[50:51], 0.5, v[38:39] op_sel_hi:[1,0,1] neg_lo:[1,0,0] neg_hi:[1,0,0]
	v_pk_mul_f32 v[52:53], v[52:53], s[0:1] op_sel_hi:[1,0]
	v_pk_add_f32 v[38:39], v[38:39], v[60:61]
	v_mul_u32_u24_e32 v36, 0x32a, v28
	v_pk_add_f32 v[68:69], v[50:51], v[52:53] op_sel:[0,1] op_sel_hi:[1,0] neg_lo:[0,1] neg_hi:[0,1]
	v_pk_add_f32 v[50:51], v[50:51], v[52:53] op_sel:[0,1] op_sel_hi:[1,0]
	v_pk_add_f32 v[38:39], v[38:39], v[62:63]
	v_sub_u32_e32 v8, v8, v36
	global_store_dwordx2 v[46:47], v[38:39], off
	v_mov_b32_e32 v38, v50
	v_mov_b32_e32 v39, v69
	v_mad_u32_u24 v8, v28, s3, v8
	global_store_dwordx2 v[56:57], v[38:39], off
	v_lshl_add_u64 v[46:47], v[8:9], 3, v[20:21]
	v_add_u32_e32 v38, 0x32a, v8
	v_add_u32_e32 v8, 0x654, v8
	v_mov_b32_e32 v36, v49
	v_lshl_add_u64 v[52:53], v[8:9], 3, v[20:21]
	v_mov_b32_e32 v8, v37
	v_mov_b32_e32 v28, v37
	s_waitcnt vmcnt(6)
	v_pk_mul_f32 v[36:37], v[64:65], v[36:37] op_sel_hi:[1,0]
	v_mov_b32_e32 v44, v45
	v_pk_fma_f32 v[48:49], v[8:9], v[64:65], v[36:37] op_sel:[0,0,1] op_sel_hi:[1,1,0] neg_lo:[0,0,1] neg_hi:[0,0,1]
	v_pk_fma_f32 v[36:37], v[28:29], v[64:65], v[36:37] op_sel:[0,0,1] op_sel_hi:[0,1,0]
	v_mov_b32_e32 v8, v29
	v_add_co_u32_e32 v36, vcc, s1, v54
	v_mov_b32_e32 v28, v29
	v_pk_mul_f32 v[44:45], v[66:67], v[44:45] op_sel_hi:[1,0]
	v_mov_b32_e32 v49, v37
	v_addc_co_u32_e32 v37, vcc, 0, v55, vcc
	v_pk_fma_f32 v[54:55], v[8:9], v[66:67], v[44:45] op_sel:[0,0,1] op_sel_hi:[1,1,0] neg_lo:[0,0,1] neg_hi:[0,0,1]
	v_pk_fma_f32 v[28:29], v[28:29], v[66:67], v[44:45] op_sel:[0,0,1] op_sel_hi:[0,1,0]
	v_mov_b32_e32 v39, v9
	v_mov_b32_e32 v55, v29
	;; [unrolled: 1-line block ×3, first 2 shown]
	v_lshl_add_u64 v[50:51], v[38:39], 3, v[20:21]
	global_load_dwordx4 v[36:39], v[36:37], off offset:2304
	v_pk_add_f32 v[28:29], v[48:49], v[54:55]
	v_pk_add_f32 v[44:45], v[48:49], v[54:55] neg_lo:[0,1] neg_hi:[0,1]
	v_pk_fma_f32 v[28:29], v[28:29], 0.5, v[30:31] op_sel_hi:[1,0,1] neg_lo:[1,0,0] neg_hi:[1,0,0]
	v_pk_mul_f32 v[44:45], v[44:45], s[0:1] op_sel_hi:[1,0]
	v_pk_add_f32 v[30:31], v[30:31], v[48:49]
	v_pk_add_f32 v[56:57], v[28:29], v[44:45] op_sel:[0,1] op_sel_hi:[1,0] neg_lo:[0,1] neg_hi:[0,1]
	v_pk_add_f32 v[28:29], v[28:29], v[44:45] op_sel:[0,1] op_sel_hi:[1,0]
	v_pk_add_f32 v[30:31], v[30:31], v[54:55]
	v_add_u32_e32 v8, 0x1e6, v122
	global_store_dwordx2 v[58:59], v[68:69], off
	global_store_dwordx2 v[46:47], v[30:31], off
	v_mov_b32_e32 v30, v28
	v_mul_hi_u32 v28, v8, s2
	v_lshrrev_b32_e32 v28, 8, v28
	v_mov_b32_e32 v31, v57
	v_mov_b32_e32 v57, v29
	v_mul_u32_u24_e32 v29, 0x32a, v28
	v_sub_u32_e32 v8, v8, v29
	v_mad_u32_u24 v8, v28, s3, v8
	v_add_co_u32_e32 v26, vcc, s1, v26
	v_add_u32_e32 v28, 0x32a, v8
	v_mov_b32_e32 v29, v9
	v_addc_co_u32_e32 v27, vcc, 0, v27, vcc
	v_lshl_add_u64 v[44:45], v[28:29], 3, v[20:21]
	global_load_dwordx4 v[26:29], v[26:27], off offset:2304
	s_waitcnt vmcnt(7)
	v_pk_mul_f32 v[48:49], v[40:41], v[34:35] op_sel_hi:[1,0]
	global_store_dwordx2 v[50:51], v[30:31], off
	v_pk_fma_f32 v[50:51], v[16:17], v[40:41], v[48:49] op_sel:[0,0,1] op_sel_hi:[1,1,0] neg_lo:[0,0,1] neg_hi:[0,0,1]
	v_pk_fma_f32 v[40:41], v[16:17], v[40:41], v[48:49] op_sel:[0,0,1] op_sel_hi:[0,1,0]
	v_mov_b32_e32 v51, v41
	v_pk_mul_f32 v[40:41], v[42:43], v[32:33] op_sel_hi:[1,0]
	v_add_co_u32_e32 v24, vcc, s1, v24
	v_pk_fma_f32 v[48:49], v[12:13], v[42:43], v[40:41] op_sel:[0,0,1] op_sel_hi:[1,1,0] neg_lo:[0,0,1] neg_hi:[0,0,1]
	v_pk_fma_f32 v[40:41], v[12:13], v[42:43], v[40:41] op_sel:[0,0,1] op_sel_hi:[0,1,0]
	v_mov_b32_e32 v49, v41
	v_pk_add_f32 v[40:41], v[50:51], v[48:49]
	v_pk_add_f32 v[42:43], v[50:51], v[48:49] neg_lo:[0,1] neg_hi:[0,1]
	v_pk_fma_f32 v[40:41], v[40:41], 0.5, v[18:19] op_sel_hi:[1,0,1] neg_lo:[1,0,0] neg_hi:[1,0,0]
	v_pk_mul_f32 v[42:43], v[42:43], s[0:1] op_sel_hi:[1,0]
	v_pk_add_f32 v[18:19], v[18:19], v[50:51]
	global_store_dwordx2 v[52:53], v[56:57], off
	v_lshl_add_u64 v[30:31], v[8:9], 3, v[20:21]
	v_pk_add_f32 v[52:53], v[40:41], v[42:43] op_sel:[0,1] op_sel_hi:[1,0] neg_lo:[0,1] neg_hi:[0,1]
	v_pk_add_f32 v[40:41], v[40:41], v[42:43] op_sel:[0,1] op_sel_hi:[1,0]
	v_pk_add_f32 v[18:19], v[18:19], v[48:49]
	v_addc_co_u32_e32 v25, vcc, 0, v25, vcc
	global_store_dwordx2 v[30:31], v[18:19], off
	v_mov_b32_e32 v18, v40
	v_mov_b32_e32 v19, v53
	;; [unrolled: 1-line block ×3, first 2 shown]
	global_load_dwordx4 v[40:43], v[24:25], off offset:2304
	v_add_u32_e32 v8, 0x654, v8
	v_lshl_add_u64 v[46:47], v[8:9], 3, v[20:21]
	v_add_u32_e32 v8, 0x237, v122
	v_mul_hi_u32 v12, v8, s2
	v_lshrrev_b32_e32 v12, 8, v12
	v_mul_u32_u24_e32 v16, 0x32a, v12
	v_sub_u32_e32 v8, v8, v16
	v_mad_u32_u24 v8, v12, s3, v8
	global_store_dwordx2 v[44:45], v[18:19], off
	v_lshl_add_u64 v[18:19], v[8:9], 3, v[20:21]
	v_add_u32_e32 v30, 0x32a, v8
	v_add_u32_e32 v8, 0x654, v8
	v_mov_b32_e32 v16, v35
	v_lshl_add_u64 v[24:25], v[8:9], 3, v[20:21]
	v_mov_b32_e32 v8, v17
	v_mov_b32_e32 v12, v17
	global_store_dwordx2 v[46:47], v[52:53], off
	v_mov_b32_e32 v31, v9
	v_lshl_add_u64 v[30:31], v[30:31], 3, v[20:21]
	s_waitcnt vmcnt(9)
	v_pk_mul_f32 v[16:17], v[36:37], v[16:17] op_sel_hi:[1,0]
	s_nop 0
	v_pk_fma_f32 v[34:35], v[8:9], v[36:37], v[16:17] op_sel:[0,0,1] op_sel_hi:[1,1,0] neg_lo:[0,0,1] neg_hi:[0,0,1]
	v_pk_fma_f32 v[16:17], v[12:13], v[36:37], v[16:17] op_sel:[0,0,1] op_sel_hi:[0,1,0]
	v_mov_b32_e32 v16, v33
	v_mov_b32_e32 v35, v17
	;; [unrolled: 1-line block ×4, first 2 shown]
	v_pk_mul_f32 v[16:17], v[38:39], v[16:17] op_sel_hi:[1,0]
	s_nop 0
	v_pk_fma_f32 v[32:33], v[8:9], v[38:39], v[16:17] op_sel:[0,0,1] op_sel_hi:[1,1,0] neg_lo:[0,0,1] neg_hi:[0,0,1]
	v_pk_fma_f32 v[12:13], v[12:13], v[38:39], v[16:17] op_sel:[0,0,1] op_sel_hi:[0,1,0]
	v_mov_b32_e32 v33, v13
	v_pk_add_f32 v[12:13], v[34:35], v[32:33]
	v_pk_add_f32 v[16:17], v[34:35], v[32:33] neg_lo:[0,1] neg_hi:[0,1]
	v_pk_fma_f32 v[12:13], v[12:13], 0.5, v[14:15] op_sel_hi:[1,0,1] neg_lo:[1,0,0] neg_hi:[1,0,0]
	v_pk_mul_f32 v[16:17], v[16:17], s[0:1] op_sel_hi:[1,0]
	v_pk_add_f32 v[14:15], v[14:15], v[34:35]
	v_pk_add_f32 v[36:37], v[12:13], v[16:17] op_sel:[0,1] op_sel_hi:[1,0] neg_lo:[0,1] neg_hi:[0,1]
	v_pk_add_f32 v[12:13], v[12:13], v[16:17] op_sel:[0,1] op_sel_hi:[1,0]
	v_pk_add_f32 v[14:15], v[14:15], v[32:33]
	global_store_dwordx2 v[18:19], v[14:15], off
	v_mov_b32_e32 v15, v37
	v_mov_b32_e32 v37, v13
	global_store_dwordx2 v[24:25], v[36:37], off
	v_add_u32_e32 v8, 0x288, v122
	v_mov_b32_e32 v14, v12
	v_mul_hi_u32 v12, v8, s2
	s_waitcnt vmcnt(8)
	v_pk_mul_f32 v[18:19], v[26:27], v[22:23] op_sel_hi:[1,0]
	v_lshrrev_b32_e32 v12, 8, v12
	v_pk_fma_f32 v[24:25], v[4:5], v[26:27], v[18:19] op_sel:[0,0,1] op_sel_hi:[1,1,0] neg_lo:[0,0,1] neg_hi:[0,0,1]
	v_pk_fma_f32 v[18:19], v[4:5], v[26:27], v[18:19] op_sel:[0,0,1] op_sel_hi:[0,1,0]
	v_mov_b32_e32 v25, v19
	v_pk_mul_f32 v[18:19], v[28:29], v[10:11] op_sel_hi:[1,0]
	v_mul_u32_u24_e32 v13, 0x32a, v12
	v_pk_fma_f32 v[26:27], v[2:3], v[28:29], v[18:19] op_sel:[0,0,1] op_sel_hi:[1,1,0] neg_lo:[0,0,1] neg_hi:[0,0,1]
	v_pk_fma_f32 v[18:19], v[2:3], v[28:29], v[18:19] op_sel:[0,0,1] op_sel_hi:[0,1,0]
	v_mov_b32_e32 v27, v19
	v_sub_u32_e32 v8, v8, v13
	v_pk_add_f32 v[18:19], v[24:25], v[26:27]
	v_pk_add_f32 v[28:29], v[24:25], v[26:27] neg_lo:[0,1] neg_hi:[0,1]
	v_mad_u32_u24 v8, v12, s3, v8
	v_pk_fma_f32 v[18:19], v[18:19], 0.5, v[6:7] op_sel_hi:[1,0,1] neg_lo:[1,0,0] neg_hi:[1,0,0]
	v_pk_mul_f32 v[28:29], v[28:29], s[0:1] op_sel_hi:[1,0]
	v_pk_add_f32 v[6:7], v[6:7], v[24:25]
	v_add_u32_e32 v2, 0x2d9, v122
	global_store_dwordx2 v[30:31], v[14:15], off
	v_lshl_add_u64 v[12:13], v[8:9], 3, v[20:21]
	v_add_u32_e32 v14, 0x32a, v8
	v_mov_b32_e32 v15, v9
	v_pk_add_f32 v[30:31], v[18:19], v[28:29] op_sel:[0,1] op_sel_hi:[1,0] neg_lo:[0,1] neg_hi:[0,1]
	v_pk_add_f32 v[18:19], v[18:19], v[28:29] op_sel:[0,1] op_sel_hi:[1,0]
	v_pk_add_f32 v[6:7], v[6:7], v[26:27]
	v_mul_hi_u32 v4, v2, s2
	v_lshl_add_u64 v[14:15], v[14:15], 3, v[20:21]
	global_store_dwordx2 v[12:13], v[6:7], off
	v_mov_b32_e32 v6, v18
	v_mov_b32_e32 v7, v31
	v_lshrrev_b32_e32 v4, 8, v4
	global_store_dwordx2 v[14:15], v[6:7], off
	v_mul_u32_u24_e32 v6, 0x32a, v4
	v_add_u32_e32 v8, 0x654, v8
	v_sub_u32_e32 v2, v2, v6
	v_mov_b32_e32 v10, v23
	v_lshl_add_u64 v[16:17], v[8:9], 3, v[20:21]
	v_mad_u32_u24 v8, v4, s3, v2
	v_mov_b32_e32 v4, v5
	s_waitcnt vmcnt(7)
	v_pk_mul_f32 v[14:15], v[40:41], v[10:11] op_sel_hi:[1,0]
	v_mov_b32_e32 v31, v19
	v_mov_b32_e32 v2, v5
	v_pk_fma_f32 v[4:5], v[4:5], v[40:41], v[14:15] op_sel:[0,0,1] op_sel_hi:[0,1,0]
	v_mov_b32_e32 v10, v11
	global_store_dwordx2 v[16:17], v[30:31], off
	v_pk_fma_f32 v[16:17], v[2:3], v[40:41], v[14:15] op_sel:[0,0,1] op_sel_hi:[1,1,0] neg_lo:[0,0,1] neg_hi:[0,0,1]
	v_mov_b32_e32 v2, v3
	v_mov_b32_e32 v4, v3
	v_pk_mul_f32 v[10:11], v[42:43], v[10:11] op_sel_hi:[1,0]
	v_mov_b32_e32 v17, v5
	v_pk_fma_f32 v[2:3], v[2:3], v[42:43], v[10:11] op_sel:[0,0,1] op_sel_hi:[1,1,0] neg_lo:[0,0,1] neg_hi:[0,0,1]
	v_pk_fma_f32 v[4:5], v[4:5], v[42:43], v[10:11] op_sel:[0,0,1] op_sel_hi:[0,1,0]
	v_mov_b32_e32 v3, v5
	v_pk_add_f32 v[4:5], v[16:17], v[2:3]
	v_pk_add_f32 v[10:11], v[16:17], v[2:3] neg_lo:[0,1] neg_hi:[0,1]
	v_pk_fma_f32 v[4:5], v[4:5], 0.5, v[0:1] op_sel_hi:[1,0,1] neg_lo:[1,0,0] neg_hi:[1,0,0]
	v_pk_mul_f32 v[10:11], v[10:11], s[0:1] op_sel_hi:[1,0]
	v_pk_add_f32 v[0:1], v[0:1], v[16:17]
	v_lshl_add_u64 v[6:7], v[8:9], 3, v[20:21]
	v_add_u32_e32 v12, 0x32a, v8
	v_mov_b32_e32 v13, v9
	v_add_u32_e32 v8, 0x654, v8
	v_pk_add_f32 v[14:15], v[4:5], v[10:11] op_sel:[0,1] op_sel_hi:[1,0] neg_lo:[0,1] neg_hi:[0,1]
	v_pk_add_f32 v[4:5], v[4:5], v[10:11] op_sel:[0,1] op_sel_hi:[1,0]
	v_pk_add_f32 v[0:1], v[0:1], v[2:3]
	v_lshl_add_u64 v[12:13], v[12:13], 3, v[20:21]
	v_lshl_add_u64 v[8:9], v[8:9], 3, v[20:21]
	global_store_dwordx2 v[6:7], v[0:1], off
	v_mov_b32_e32 v0, v4
	v_mov_b32_e32 v1, v15
	;; [unrolled: 1-line block ×3, first 2 shown]
	global_store_dwordx2 v[12:13], v[0:1], off
	global_store_dwordx2 v[8:9], v[14:15], off
.LBB0_15:
	s_endpgm
	.section	.rodata,"a",@progbits
	.p2align	6, 0x0
	.amdhsa_kernel fft_rtc_fwd_len2430_factors_10_3_3_3_3_3_wgs_81_tpt_81_halfLds_sp_op_CI_CI_unitstride_sbrr_dirReg
		.amdhsa_group_segment_fixed_size 0
		.amdhsa_private_segment_fixed_size 0
		.amdhsa_kernarg_size 104
		.amdhsa_user_sgpr_count 2
		.amdhsa_user_sgpr_dispatch_ptr 0
		.amdhsa_user_sgpr_queue_ptr 0
		.amdhsa_user_sgpr_kernarg_segment_ptr 1
		.amdhsa_user_sgpr_dispatch_id 0
		.amdhsa_user_sgpr_kernarg_preload_length 0
		.amdhsa_user_sgpr_kernarg_preload_offset 0
		.amdhsa_user_sgpr_private_segment_size 0
		.amdhsa_uses_dynamic_stack 0
		.amdhsa_enable_private_segment 0
		.amdhsa_system_sgpr_workgroup_id_x 1
		.amdhsa_system_sgpr_workgroup_id_y 0
		.amdhsa_system_sgpr_workgroup_id_z 0
		.amdhsa_system_sgpr_workgroup_info 0
		.amdhsa_system_vgpr_workitem_id 0
		.amdhsa_next_free_vgpr 147
		.amdhsa_next_free_sgpr 28
		.amdhsa_accum_offset 148
		.amdhsa_reserve_vcc 1
		.amdhsa_float_round_mode_32 0
		.amdhsa_float_round_mode_16_64 0
		.amdhsa_float_denorm_mode_32 3
		.amdhsa_float_denorm_mode_16_64 3
		.amdhsa_dx10_clamp 1
		.amdhsa_ieee_mode 1
		.amdhsa_fp16_overflow 0
		.amdhsa_tg_split 0
		.amdhsa_exception_fp_ieee_invalid_op 0
		.amdhsa_exception_fp_denorm_src 0
		.amdhsa_exception_fp_ieee_div_zero 0
		.amdhsa_exception_fp_ieee_overflow 0
		.amdhsa_exception_fp_ieee_underflow 0
		.amdhsa_exception_fp_ieee_inexact 0
		.amdhsa_exception_int_div_zero 0
	.end_amdhsa_kernel
	.text
.Lfunc_end0:
	.size	fft_rtc_fwd_len2430_factors_10_3_3_3_3_3_wgs_81_tpt_81_halfLds_sp_op_CI_CI_unitstride_sbrr_dirReg, .Lfunc_end0-fft_rtc_fwd_len2430_factors_10_3_3_3_3_3_wgs_81_tpt_81_halfLds_sp_op_CI_CI_unitstride_sbrr_dirReg
                                        ; -- End function
	.section	.AMDGPU.csdata,"",@progbits
; Kernel info:
; codeLenInByte = 18704
; NumSgprs: 34
; NumVgprs: 147
; NumAgprs: 0
; TotalNumVgprs: 147
; ScratchSize: 0
; MemoryBound: 0
; FloatMode: 240
; IeeeMode: 1
; LDSByteSize: 0 bytes/workgroup (compile time only)
; SGPRBlocks: 4
; VGPRBlocks: 18
; NumSGPRsForWavesPerEU: 34
; NumVGPRsForWavesPerEU: 147
; AccumOffset: 148
; Occupancy: 3
; WaveLimiterHint : 1
; COMPUTE_PGM_RSRC2:SCRATCH_EN: 0
; COMPUTE_PGM_RSRC2:USER_SGPR: 2
; COMPUTE_PGM_RSRC2:TRAP_HANDLER: 0
; COMPUTE_PGM_RSRC2:TGID_X_EN: 1
; COMPUTE_PGM_RSRC2:TGID_Y_EN: 0
; COMPUTE_PGM_RSRC2:TGID_Z_EN: 0
; COMPUTE_PGM_RSRC2:TIDIG_COMP_CNT: 0
; COMPUTE_PGM_RSRC3_GFX90A:ACCUM_OFFSET: 36
; COMPUTE_PGM_RSRC3_GFX90A:TG_SPLIT: 0
	.text
	.p2alignl 6, 3212836864
	.fill 256, 4, 3212836864
	.type	__hip_cuid_e90263b2a126074f,@object ; @__hip_cuid_e90263b2a126074f
	.section	.bss,"aw",@nobits
	.globl	__hip_cuid_e90263b2a126074f
__hip_cuid_e90263b2a126074f:
	.byte	0                               ; 0x0
	.size	__hip_cuid_e90263b2a126074f, 1

	.ident	"AMD clang version 19.0.0git (https://github.com/RadeonOpenCompute/llvm-project roc-6.4.0 25133 c7fe45cf4b819c5991fe208aaa96edf142730f1d)"
	.section	".note.GNU-stack","",@progbits
	.addrsig
	.addrsig_sym __hip_cuid_e90263b2a126074f
	.amdgpu_metadata
---
amdhsa.kernels:
  - .agpr_count:     0
    .args:
      - .actual_access:  read_only
        .address_space:  global
        .offset:         0
        .size:           8
        .value_kind:     global_buffer
      - .offset:         8
        .size:           8
        .value_kind:     by_value
      - .actual_access:  read_only
        .address_space:  global
        .offset:         16
        .size:           8
        .value_kind:     global_buffer
      - .actual_access:  read_only
        .address_space:  global
        .offset:         24
        .size:           8
        .value_kind:     global_buffer
      - .actual_access:  read_only
        .address_space:  global
        .offset:         32
        .size:           8
        .value_kind:     global_buffer
      - .offset:         40
        .size:           8
        .value_kind:     by_value
      - .actual_access:  read_only
        .address_space:  global
        .offset:         48
        .size:           8
        .value_kind:     global_buffer
      - .actual_access:  read_only
        .address_space:  global
        .offset:         56
        .size:           8
        .value_kind:     global_buffer
      - .offset:         64
        .size:           4
        .value_kind:     by_value
      - .actual_access:  read_only
        .address_space:  global
        .offset:         72
        .size:           8
        .value_kind:     global_buffer
      - .actual_access:  read_only
        .address_space:  global
        .offset:         80
        .size:           8
        .value_kind:     global_buffer
      - .actual_access:  read_only
        .address_space:  global
        .offset:         88
        .size:           8
        .value_kind:     global_buffer
      - .actual_access:  write_only
        .address_space:  global
        .offset:         96
        .size:           8
        .value_kind:     global_buffer
    .group_segment_fixed_size: 0
    .kernarg_segment_align: 8
    .kernarg_segment_size: 104
    .language:       OpenCL C
    .language_version:
      - 2
      - 0
    .max_flat_workgroup_size: 81
    .name:           fft_rtc_fwd_len2430_factors_10_3_3_3_3_3_wgs_81_tpt_81_halfLds_sp_op_CI_CI_unitstride_sbrr_dirReg
    .private_segment_fixed_size: 0
    .sgpr_count:     34
    .sgpr_spill_count: 0
    .symbol:         fft_rtc_fwd_len2430_factors_10_3_3_3_3_3_wgs_81_tpt_81_halfLds_sp_op_CI_CI_unitstride_sbrr_dirReg.kd
    .uniform_work_group_size: 1
    .uses_dynamic_stack: false
    .vgpr_count:     147
    .vgpr_spill_count: 0
    .wavefront_size: 64
amdhsa.target:   amdgcn-amd-amdhsa--gfx950
amdhsa.version:
  - 1
  - 2
...

	.end_amdgpu_metadata
